;; amdgpu-corpus repo=pytorch/pytorch kind=compiled arch=gfx90a opt=O3
	.text
	.amdgcn_target "amdgcn-amd-amdhsa--gfx90a"
	.amdhsa_code_object_version 6
	.p2align	2                               ; -- Begin function _ZN2at6native25elementwise_kernel_helperILb0EZZZNS0_12_GLOBAL__N_130modified_bessel_k0_kernel_cudaERNS_18TensorIteratorBaseEENKUlvE_clEvENKUlvE_clEvEUldE_NS0_6memory8policies11unroll_baseILi256ESt5arrayIPcLm2EE23TrivialOffsetCalculatorILi1EjESF_NS8_15LoadWithoutCastENS8_16StoreWithoutCastELi4ELi1EEEEEvT0_T1_
	.type	_ZN2at6native25elementwise_kernel_helperILb0EZZZNS0_12_GLOBAL__N_130modified_bessel_k0_kernel_cudaERNS_18TensorIteratorBaseEENKUlvE_clEvENKUlvE_clEvEUldE_NS0_6memory8policies11unroll_baseILi256ESt5arrayIPcLm2EE23TrivialOffsetCalculatorILi1EjESF_NS8_15LoadWithoutCastENS8_16StoreWithoutCastELi4ELi1EEEEEvT0_T1_,@function
_ZN2at6native25elementwise_kernel_helperILb0EZZZNS0_12_GLOBAL__N_130modified_bessel_k0_kernel_cudaERNS_18TensorIteratorBaseEENKUlvE_clEvENKUlvE_clEvEUldE_NS0_6memory8policies11unroll_baseILi256ESt5arrayIPcLm2EE23TrivialOffsetCalculatorILi1EjESF_NS8_15LoadWithoutCastENS8_16StoreWithoutCastELi4ELi1EEEEEvT0_T1_: ; @_ZN2at6native25elementwise_kernel_helperILb0EZZZNS0_12_GLOBAL__N_130modified_bessel_k0_kernel_cudaERNS_18TensorIteratorBaseEENKUlvE_clEvENKUlvE_clEvEUldE_NS0_6memory8policies11unroll_baseILi256ESt5arrayIPcLm2EE23TrivialOffsetCalculatorILi1EjESF_NS8_15LoadWithoutCastENS8_16StoreWithoutCastELi4ELi1EEEEEvT0_T1_
; %bb.0:
	s_waitcnt vmcnt(0) expcnt(0) lgkmcnt(0)
	v_and_b32_e32 v5, 0x3ff, v31
	s_lshl_b32 s16, s12, 10
	v_pk_mov_b32 v[20:21], 0, 0
	v_cmp_lt_i32_e64 s[4:5], v5, v4
	v_or_b32_e32 v14, s16, v5
	v_pk_mov_b32 v[22:23], v[20:21], v[20:21] op_sel:[0,1]
	v_mov_b32_e32 v6, v5
	s_and_saveexec_b64 s[6:7], s[4:5]
	s_cbranch_execz .LBB0_2
; %bb.1:
	v_mov_b32_e32 v15, 0
	v_lshlrev_b64 v[6:7], 3, v[14:15]
	v_add_co_u32_e32 v6, vcc, v2, v6
	v_addc_co_u32_e32 v7, vcc, v3, v7, vcc
	flat_load_dwordx2 v[22:23], v[6:7]
	v_add_u32_e32 v6, 0x100, v5
.LBB0_2:
	s_or_b64 exec, exec, s[6:7]
	v_cmp_lt_i32_e32 vcc, v6, v4
	s_and_saveexec_b64 s[6:7], vcc
	s_cbranch_execz .LBB0_4
; %bb.3:
	v_add_u32_e32 v8, s16, v6
	v_mov_b32_e32 v9, 0
	v_lshlrev_b64 v[8:9], 3, v[8:9]
	v_add_co_u32_e32 v8, vcc, v2, v8
	v_addc_co_u32_e32 v9, vcc, v3, v9, vcc
	flat_load_dwordx2 v[20:21], v[8:9]
	v_add_u32_e32 v6, 0x100, v6
.LBB0_4:
	s_or_b64 exec, exec, s[6:7]
	v_pk_mov_b32 v[16:17], 0, 0
	v_cmp_lt_i32_e32 vcc, v6, v4
	v_pk_mov_b32 v[18:19], v[16:17], v[16:17] op_sel:[0,1]
	s_and_saveexec_b64 s[6:7], vcc
	s_cbranch_execnz .LBB0_7
; %bb.5:
	s_or_b64 exec, exec, s[6:7]
	v_cmp_lt_i32_e32 vcc, v6, v4
	s_and_saveexec_b64 s[6:7], vcc
	s_cbranch_execnz .LBB0_8
.LBB0_6:
	s_or_b64 exec, exec, s[6:7]
                                        ; implicit-def: $vgpr6_vgpr7_vgpr8_vgpr9_vgpr10_vgpr11_vgpr12_vgpr13
	s_and_saveexec_b64 s[6:7], s[4:5]
	s_cbranch_execnz .LBB0_9
	s_branch .LBB0_22
.LBB0_7:
	v_add_u32_e32 v8, s16, v6
	v_mov_b32_e32 v9, 0
	v_lshlrev_b64 v[8:9], 3, v[8:9]
	v_add_co_u32_e32 v8, vcc, v2, v8
	v_addc_co_u32_e32 v9, vcc, v3, v9, vcc
	flat_load_dwordx2 v[18:19], v[8:9]
	v_add_u32_e32 v6, 0x100, v6
	s_or_b64 exec, exec, s[6:7]
	v_cmp_lt_i32_e32 vcc, v6, v4
	s_and_saveexec_b64 s[6:7], vcc
	s_cbranch_execz .LBB0_6
.LBB0_8:
	v_add_u32_e32 v6, s16, v6
	v_mov_b32_e32 v7, 0
	v_lshlrev_b64 v[6:7], 3, v[6:7]
	v_add_co_u32_e32 v2, vcc, v2, v6
	v_addc_co_u32_e32 v3, vcc, v3, v7, vcc
	flat_load_dwordx2 v[16:17], v[2:3]
	s_or_b64 exec, exec, s[6:7]
                                        ; implicit-def: $vgpr6_vgpr7_vgpr8_vgpr9_vgpr10_vgpr11_vgpr12_vgpr13
	s_and_saveexec_b64 s[6:7], s[4:5]
	s_cbranch_execz .LBB0_22
.LBB0_9:
	v_mov_b32_e32 v6, 0
	s_waitcnt vmcnt(0) lgkmcnt(0)
	v_cmp_neq_f64_e32 vcc, 0, v[22:23]
	v_mov_b32_e32 v7, 0x7ff00000
	s_and_saveexec_b64 s[8:9], vcc
	s_cbranch_execz .LBB0_21
; %bb.10:
	v_mov_b32_e32 v6, 0
	v_cmp_ngt_f64_e32 vcc, 0, v[22:23]
	v_mov_b32_e32 v7, 0x7ff80000
	s_and_saveexec_b64 s[10:11], vcc
	s_cbranch_execz .LBB0_20
; %bb.11:
	v_cmp_ge_f64_e32 vcc, 2.0, v[22:23]
                                        ; implicit-def: $vgpr6_vgpr7
	s_and_saveexec_b64 s[12:13], vcc
	s_xor_b64 s[12:13], exec, s[12:13]
	s_cbranch_execz .LBB0_17
; %bb.12:
	s_mov_b32 s14, 0
	s_mov_b32 s15, 0x40200000
	v_mul_f64 v[2:3], v[22:23], 0.5
	v_cmp_ge_f64_e32 vcc, s[14:15], v[22:23]
                                        ; implicit-def: $vgpr6_vgpr7
	s_and_saveexec_b64 s[14:15], vcc
	s_xor_b64 s[14:15], exec, s[14:15]
	s_cbranch_execz .LBB0_14
; %bb.13:
	s_mov_b32 s18, 0x2134d0ef
	v_add_f64 v[6:7], v[2:3], -2.0
	v_mov_b32_e32 v8, 0x977da589
	v_mov_b32_e32 v9, 0x3c833362
	s_mov_b32 s19, 0xbc545cb7
	v_fmac_f64_e32 v[8:9], s[18:19], v[6:7]
	v_mov_b32_e32 v10, 0x2134d0ef
	v_mov_b32_e32 v11, 0x3c545cb7
	s_mov_b32 s18, 0x721ebbb4
	v_fmac_f64_e32 v[10:11], v[6:7], v[8:9]
	s_mov_b32 s19, 0xbcb184eb
	v_add_f64 v[10:11], v[10:11], s[18:19]
	s_mov_b32 s18, 0x93f65eba
	v_fma_f64 v[8:9], v[6:7], v[10:11], -v[8:9]
	s_mov_b32 s19, 0x3cdee6d8
	v_add_f64 v[8:9], v[8:9], s[18:19]
	s_mov_b32 s18, 0xc297fbeb
	v_fma_f64 v[10:11], v[6:7], v[8:9], -v[10:11]
	;; [unrolled: 4-line block ×27, first 2 shown]
	s_mov_b32 s19, 0x3fe5a84e
	v_add_f64 v[6:7], v[6:7], s[18:19]
	s_mov_b32 s18, 0x652b82fe
	s_mov_b32 s19, 0x3ff71547
	v_mul_f64 v[10:11], v[22:23], s[18:19]
	s_mov_b32 s18, 0xfefa39ef
	v_rndne_f64_e32 v[10:11], v[10:11]
	s_mov_b32 s19, 0xbfe62e42
	v_fma_f64 v[12:13], s[18:19], v[10:11], v[22:23]
	s_mov_b32 s18, 0x3b39803f
	s_mov_b32 s19, 0xbc7abc9e
	v_fmac_f64_e32 v[12:13], s[18:19], v[10:11]
	s_mov_b32 s18, 0x6a5dcb37
	v_mov_b32_e32 v24, 0xfca7ab0c
	v_mov_b32_e32 v25, 0x3e928af3
	s_mov_b32 s19, 0x3e5ade15
	v_fmac_f64_e32 v[24:25], s[18:19], v[12:13]
	v_mov_b32_e32 v26, 0x623fde64
	v_mov_b32_e32 v27, 0x3ec71dee
	v_fmac_f64_e32 v[26:27], v[12:13], v[24:25]
	v_mov_b32_e32 v24, 0x7c89e6b0
	v_mov_b32_e32 v25, 0x3efa0199
	;; [unrolled: 3-line block ×8, first 2 shown]
	v_fmac_f64_e32 v[24:25], v[12:13], v[26:27]
	v_fma_f64 v[24:25], v[12:13], v[24:25], 1.0
	s_mov_b32 s18, 0
	v_fma_f64 v[12:13], v[12:13], v[24:25], 1.0
	v_cvt_i32_f64_e32 v10, v[10:11]
	s_mov_b32 s19, 0x40900000
	v_ldexp_f64 v[10:11], v[12:13], v10
	v_mov_b32_e32 v12, 0x7ff00000
	v_cmp_nlt_f64_e32 vcc, s[18:19], v[22:23]
	v_add_f64 v[6:7], v[6:7], -v[8:9]
	v_cndmask_b32_e32 v11, v12, v11, vcc
	v_cndmask_b32_e32 v10, 0, v10, vcc
	v_mul_f64 v[6:7], v[6:7], 0.5
	v_mul_f64 v[6:7], v[10:11], v[6:7]
.LBB0_14:
	s_andn2_saveexec_b64 s[14:15], s[14:15]
	s_cbranch_execz .LBB0_16
; %bb.15:
	s_mov_b32 s18, 0
	s_mov_b32 s19, 0x40400000
	v_div_scale_f64 v[6:7], s[20:21], v[22:23], v[22:23], s[18:19]
	v_rcp_f64_e32 v[8:9], v[6:7]
	v_mov_b32_e32 v24, 0xfca7ab0c
	v_mov_b32_e32 v25, 0x3e928af3
	;; [unrolled: 1-line block ×3, first 2 shown]
	v_fma_f64 v[10:11], -v[6:7], v[8:9], 1.0
	v_fmac_f64_e32 v[8:9], v[8:9], v[10:11]
	v_fma_f64 v[10:11], -v[6:7], v[8:9], 1.0
	v_fmac_f64_e32 v[8:9], v[8:9], v[10:11]
	v_div_scale_f64 v[10:11], vcc, s[18:19], v[22:23], s[18:19]
	v_mul_f64 v[12:13], v[10:11], v[8:9]
	v_fma_f64 v[6:7], -v[6:7], v[12:13], v[10:11]
	v_mov_b32_e32 v10, 0x54ca8b19
	s_nop 0
	v_div_fmas_f64 v[6:7], v[6:7], v[8:9], v[12:13]
	v_div_fixup_f64 v[6:7], v[6:7], v[22:23], s[18:19]
	s_mov_b32 s18, 0x54ca8b19
	v_add_f64 v[6:7], v[6:7], -2.0
	v_mov_b32_e32 v8, 0x66119130
	v_mov_b32_e32 v9, 0xbc5646da
	s_mov_b32 s19, 0xbc60adb7
	v_fmac_f64_e32 v[8:9], s[18:19], v[6:7]
	v_mov_b32_e32 v11, 0x3c60adb7
	s_mov_b32 s18, 0x12d98421
	v_fmac_f64_e32 v[10:11], v[6:7], v[8:9]
	s_mov_b32 s19, 0x3c89be18
	v_add_f64 v[10:11], v[10:11], s[18:19]
	s_mov_b32 s18, 0x76041cd
	v_fma_f64 v[8:9], v[6:7], v[10:11], -v[8:9]
	s_mov_b32 s19, 0x3c83f3dd
	v_add_f64 v[8:9], v[8:9], s[18:19]
	s_mov_b32 s18, 0xabd21fe4
	v_fma_f64 v[10:11], v[6:7], v[8:9], -v[10:11]
	;; [unrolled: 4-line block ×22, first 2 shown]
	s_mov_b32 s19, 0x3fe9be62
	v_add_f64 v[6:7], v[6:7], s[18:19]
	s_mov_b32 s18, 0x652b82fe
	s_mov_b32 s19, 0x3ff71547
	v_mul_f64 v[8:9], v[22:23], s[18:19]
	s_mov_b32 s18, 0xfefa39ef
	v_rndne_f64_e32 v[8:9], v[8:9]
	s_mov_b32 s19, 0xbfe62e42
	v_fma_f64 v[12:13], s[18:19], v[8:9], v[22:23]
	s_mov_b32 s18, 0x3b39803f
	s_mov_b32 s19, 0xbc7abc9e
	v_fmac_f64_e32 v[12:13], s[18:19], v[8:9]
	s_mov_b32 s18, 0x6a5dcb37
	s_mov_b32 s19, 0x3e5ade15
	v_fmac_f64_e32 v[24:25], s[18:19], v[12:13]
	v_mov_b32_e32 v27, 0x3ec71dee
	v_fmac_f64_e32 v[26:27], v[12:13], v[24:25]
	v_mov_b32_e32 v24, 0x7c89e6b0
	v_mov_b32_e32 v25, 0x3efa0199
	v_fmac_f64_e32 v[24:25], v[12:13], v[26:27]
	v_mov_b32_e32 v26, 0x14761f6e
	;; [unrolled: 3-line block ×7, first 2 shown]
	v_mov_b32_e32 v25, 0x3fe00000
	v_fmac_f64_e32 v[24:25], v[12:13], v[26:27]
	s_mov_b32 s18, 0
	v_fma_f64 v[24:25], v[12:13], v[24:25], 1.0
	s_mov_b32 s19, 0x40900000
	v_fma_f64 v[12:13], v[12:13], v[24:25], 1.0
	v_cvt_i32_f64_e32 v8, v[8:9]
	v_cmp_nlt_f64_e32 vcc, s[18:19], v[22:23]
	s_mov_b32 s18, 0
	v_ldexp_f64 v[8:9], v[12:13], v8
	v_mov_b32_e32 v12, 0x7ff00000
	s_brev_b32 s19, 8
	v_cndmask_b32_e32 v9, v12, v9, vcc
	v_cndmask_b32_e32 v8, 0, v8, vcc
	v_cmp_gt_f64_e32 vcc, s[18:19], v[22:23]
	v_cndmask_b32_e64 v12, 0, 1, vcc
	v_lshlrev_b32_e32 v12, 8, v12
	v_ldexp_f64 v[12:13], v[22:23], v12
	v_rsq_f64_e32 v[24:25], v[12:13]
	v_add_f64 v[6:7], v[6:7], -v[10:11]
	v_mul_f64 v[6:7], v[6:7], 0.5
	v_mul_f64 v[6:7], v[8:9], v[6:7]
	v_mul_f64 v[8:9], v[12:13], v[24:25]
	v_mul_f64 v[10:11], v[24:25], 0.5
	v_fma_f64 v[24:25], -v[10:11], v[8:9], 0.5
	v_fmac_f64_e32 v[8:9], v[8:9], v[24:25]
	v_fma_f64 v[26:27], -v[8:9], v[8:9], v[12:13]
	v_fmac_f64_e32 v[10:11], v[10:11], v[24:25]
	v_fmac_f64_e32 v[8:9], v[26:27], v[10:11]
	v_fma_f64 v[24:25], -v[8:9], v[8:9], v[12:13]
	v_fmac_f64_e32 v[8:9], v[24:25], v[10:11]
	v_mov_b32_e32 v10, 0xffffff80
	v_cndmask_b32_e32 v10, 0, v10, vcc
	v_ldexp_f64 v[8:9], v[8:9], v10
	v_mov_b32_e32 v10, 0x260
	v_cmp_class_f64_e32 vcc, v[12:13], v10
	v_cndmask_b32_e32 v9, v9, v13, vcc
	v_cndmask_b32_e32 v8, v8, v12, vcc
	v_div_scale_f64 v[10:11], s[18:19], v[8:9], v[8:9], v[6:7]
	v_rcp_f64_e32 v[12:13], v[10:11]
	v_fma_f64 v[24:25], -v[10:11], v[12:13], 1.0
	v_fmac_f64_e32 v[12:13], v[12:13], v[24:25]
	v_fma_f64 v[24:25], -v[10:11], v[12:13], 1.0
	v_fmac_f64_e32 v[12:13], v[12:13], v[24:25]
	v_div_scale_f64 v[24:25], vcc, v[6:7], v[8:9], v[6:7]
	v_mul_f64 v[26:27], v[24:25], v[12:13]
	v_fma_f64 v[10:11], -v[10:11], v[26:27], v[24:25]
	s_nop 1
	v_div_fmas_f64 v[10:11], v[10:11], v[12:13], v[26:27]
	v_div_fixup_f64 v[6:7], v[10:11], v[8:9], v[6:7]
.LBB0_16:
	s_or_b64 exec, exec, s[14:15]
	s_mov_b32 s14, 0xe6a7fd77
	v_fma_f64 v[8:9], v[22:23], v[22:23], -2.0
	v_mov_b32_e32 v10, 0xc384c2aa
	v_mov_b32_e32 v11, 0x3d27fb0a
	s_mov_b32 s15, 0x3ca3cee1
	v_fmac_f64_e32 v[10:11], s[14:15], v[8:9]
	v_mov_b32_e32 v12, 0xe6a7fd77
	v_mov_b32_e32 v13, 0xbca3cee1
	s_mov_b32 s14, 0x47512144
	v_fmac_f64_e32 v[12:13], v[8:9], v[10:11]
	s_mov_b32 s15, 0x3da6c25c
	v_add_f64 v[12:13], v[12:13], s[14:15]
	s_mov_b32 s14, 0x67e58a13
	v_fma_f64 v[10:11], v[8:9], v[12:13], -v[10:11]
	s_mov_b32 s15, 0x3e205c13
	v_add_f64 v[10:11], v[10:11], s[14:15]
	s_mov_b32 s14, 0xe7f95efc
	v_fma_f64 v[12:13], v[8:9], v[10:11], -v[12:13]
	;; [unrolled: 4-line block ×7, first 2 shown]
	s_mov_b32 s15, 0xbfe12166
	v_add_f64 v[8:9], v[8:9], s[14:15]
	s_mov_b32 s14, 0x55555555
	v_add_f64 v[8:9], v[8:9], -v[10:11]
	v_frexp_mant_f64_e32 v[10:11], v[2:3]
	s_mov_b32 s15, 0x3fe55555
	v_mov_b32_e32 v12, 0x3ff00000
	v_cmp_gt_f64_e32 vcc, s[14:15], v[10:11]
	v_cndmask_b32_e64 v13, v12, 2.0, vcc
	v_mov_b32_e32 v12, 0
	v_mul_f64 v[10:11], v[10:11], v[12:13]
	v_add_f64 v[12:13], v[10:11], 1.0
	v_rcp_f64_e32 v[22:23], v[12:13]
	v_add_f64 v[26:27], v[12:13], -1.0
	v_add_f64 v[24:25], v[10:11], -1.0
	v_add_f64 v[10:11], v[10:11], -v[26:27]
	v_fma_f64 v[26:27], -v[12:13], v[22:23], 1.0
	v_fmac_f64_e32 v[22:23], v[26:27], v[22:23]
	v_fma_f64 v[26:27], -v[12:13], v[22:23], 1.0
	v_fmac_f64_e32 v[22:23], v[26:27], v[22:23]
	v_mul_f64 v[26:27], v[24:25], v[22:23]
	v_mul_f64 v[28:29], v[12:13], v[26:27]
	v_fma_f64 v[12:13], v[26:27], v[12:13], -v[28:29]
	v_fmac_f64_e32 v[12:13], v[26:27], v[10:11]
	v_add_f64 v[10:11], v[28:29], v[12:13]
	v_add_f64 v[30:31], v[24:25], -v[10:11]
	v_add_f64 v[28:29], v[10:11], -v[28:29]
	;; [unrolled: 1-line block ×5, first 2 shown]
	v_add_f64 v[10:11], v[12:13], v[10:11]
	v_add_f64 v[10:11], v[30:31], v[10:11]
	v_mul_f64 v[10:11], v[22:23], v[10:11]
	v_add_f64 v[12:13], v[26:27], v[10:11]
	v_add_f64 v[22:23], v[12:13], -v[26:27]
	s_mov_b32 s14, 0xbf559e2b
	v_add_f64 v[10:11], v[10:11], -v[22:23]
	v_mul_f64 v[22:23], v[12:13], v[12:13]
	v_mov_b32_e32 v24, 0x6b47b09a
	v_mov_b32_e32 v25, 0x3fc38538
	s_mov_b32 s15, 0x3fc3ab76
	v_fmac_f64_e32 v[24:25], s[14:15], v[22:23]
	v_mov_b32_e32 v26, 0xd7f4df2e
	v_mov_b32_e32 v27, 0x3fc7474d
	v_fmac_f64_e32 v[26:27], v[22:23], v[24:25]
	v_mov_b32_e32 v24, 0x16291751
	v_mov_b32_e32 v25, 0x3fcc71c0
	v_fmac_f64_e32 v[24:25], v[22:23], v[26:27]
	v_mov_b32_e32 v26, 0x9b27acf1
	v_mov_b32_e32 v27, 0x3fd24924
	v_fmac_f64_e32 v[26:27], v[22:23], v[24:25]
	v_mov_b32_e32 v24, 0x998ef7b6
	v_mov_b32_e32 v25, 0x3fd99999
	v_fmac_f64_e32 v[24:25], v[22:23], v[26:27]
	v_mov_b32_e32 v26, 0x55555780
	v_mov_b32_e32 v27, 0x3fe55555
	v_fmac_f64_e32 v[26:27], v[22:23], v[24:25]
	v_ldexp_f64 v[24:25], v[12:13], 1
	v_mul_f64 v[12:13], v[12:13], v[22:23]
	v_mul_f64 v[12:13], v[12:13], v[26:27]
	v_add_f64 v[22:23], v[24:25], v[12:13]
	v_add_f64 v[24:25], v[22:23], -v[24:25]
	v_ldexp_f64 v[10:11], v[10:11], 1
	v_add_f64 v[12:13], v[12:13], -v[24:25]
	v_add_f64 v[10:11], v[10:11], v[12:13]
	v_frexp_exp_i32_f64_e32 v15, v[2:3]
	v_add_f64 v[12:13], v[22:23], v[10:11]
	v_subbrev_co_u32_e32 v15, vcc, 0, v15, vcc
	v_add_f64 v[22:23], v[12:13], -v[22:23]
	s_mov_b32 s14, 0xfefa39ef
	v_add_f64 v[10:11], v[10:11], -v[22:23]
	v_cvt_f64_i32_e32 v[22:23], v15
	s_mov_b32 s15, 0x3fe62e42
	v_mul_f64 v[24:25], v[22:23], s[14:15]
	v_fma_f64 v[26:27], v[22:23], s[14:15], -v[24:25]
	s_mov_b32 s14, 0x3b39803f
	s_mov_b32 s15, 0x3c7abc9e
	v_fmac_f64_e32 v[26:27], s[14:15], v[22:23]
	v_add_f64 v[22:23], v[24:25], v[26:27]
	v_add_f64 v[24:25], v[22:23], -v[24:25]
	v_add_f64 v[24:25], v[26:27], -v[24:25]
	v_add_f64 v[26:27], v[22:23], v[12:13]
	v_add_f64 v[28:29], v[26:27], -v[22:23]
	v_add_f64 v[30:31], v[26:27], -v[28:29]
	;; [unrolled: 1-line block ×4, first 2 shown]
	v_add_f64 v[12:13], v[12:13], v[22:23]
	v_add_f64 v[22:23], v[24:25], v[10:11]
	v_add_f64 v[28:29], v[22:23], -v[24:25]
	v_add_f64 v[30:31], v[22:23], -v[28:29]
	v_add_f64 v[12:13], v[22:23], v[12:13]
	v_add_f64 v[24:25], v[24:25], -v[30:31]
	v_add_f64 v[10:11], v[10:11], -v[28:29]
	v_add_f64 v[22:23], v[26:27], v[12:13]
	v_add_f64 v[10:11], v[10:11], v[24:25]
	v_add_f64 v[24:25], v[22:23], -v[26:27]
	v_add_f64 v[12:13], v[12:13], -v[24:25]
	s_mov_b32 s14, 0
	v_add_f64 v[10:11], v[10:11], v[12:13]
	s_mov_b32 s15, 0x7ff00000
	v_add_f64 v[10:11], v[22:23], v[10:11]
	v_cmp_eq_f64_e32 vcc, s[14:15], v[2:3]
	v_cndmask_b32_e32 v10, v10, v2, vcc
	v_cndmask_b32_e32 v11, v11, v3, vcc
	v_mov_b32_e32 v12, 0xfff00000
	v_cmp_neq_f64_e32 vcc, 0, v[2:3]
	v_cndmask_b32_e32 v3, v12, v11, vcc
	v_cndmask_b32_e32 v2, 0, v10, vcc
	v_mul_f64 v[2:3], v[2:3], v[6:7]
	v_fma_f64 v[6:7], v[8:9], 0.5, -v[2:3]
                                        ; implicit-def: $vgpr22_vgpr23
.LBB0_17:
	s_andn2_saveexec_b64 s[12:13], s[12:13]
	s_cbranch_execz .LBB0_19
; %bb.18:
	s_mov_b32 s14, 0
	s_mov_b32 s15, 0x40200000
	v_div_scale_f64 v[2:3], s[18:19], v[22:23], v[22:23], s[14:15]
	v_rcp_f64_e32 v[6:7], v[2:3]
	v_mov_b32_e32 v12, 0xfca7ab0c
	v_mov_b32_e32 v13, 0x3e928af3
	;; [unrolled: 1-line block ×3, first 2 shown]
	v_fma_f64 v[8:9], -v[2:3], v[6:7], 1.0
	v_fmac_f64_e32 v[6:7], v[6:7], v[8:9]
	v_fma_f64 v[8:9], -v[2:3], v[6:7], 1.0
	v_fmac_f64_e32 v[6:7], v[6:7], v[8:9]
	v_div_scale_f64 v[8:9], vcc, s[14:15], v[22:23], s[14:15]
	v_mul_f64 v[10:11], v[8:9], v[6:7]
	v_fma_f64 v[2:3], -v[2:3], v[10:11], v[8:9]
	v_mov_b32_e32 v8, 0xcf8c9ee1
	s_nop 0
	v_div_fmas_f64 v[2:3], v[2:3], v[6:7], v[10:11]
	v_div_fixup_f64 v[2:3], v[2:3], v[22:23], s[14:15]
	s_mov_b32 s14, 0xcf8c9ee1
	v_add_f64 v[2:3], v[2:3], -2.0
	v_mov_b32_e32 v6, 0x93812603
	v_mov_b32_e32 v7, 0xbc72fecc
	s_mov_b32 s15, 0x3c5871a5
	v_fmac_f64_e32 v[6:7], s[14:15], v[2:3]
	v_mov_b32_e32 v9, 0xbc5871a5
	s_mov_b32 s14, 0x41a8cdf4
	v_fmac_f64_e32 v[8:9], v[2:3], v[6:7]
	s_mov_b32 s15, 0x3c8e092e
	v_add_f64 v[8:9], v[8:9], s[14:15]
	s_mov_b32 s14, 0x74d77641
	v_fma_f64 v[6:7], v[2:3], v[8:9], -v[6:7]
	s_mov_b32 s15, 0xbca82f94
	v_add_f64 v[6:7], v[6:7], s[14:15]
	s_mov_b32 s14, 0x6b94785b
	v_fma_f64 v[8:9], v[2:3], v[6:7], -v[8:9]
	;; [unrolled: 4-line block ×22, first 2 shown]
	s_mov_b32 s15, 0x400385bd
	v_add_f64 v[2:3], v[2:3], s[14:15]
	s_mov_b32 s14, 0x652b82fe
	s_mov_b32 s15, 0xbff71547
	v_mul_f64 v[6:7], v[22:23], s[14:15]
	s_mov_b32 s14, 0xfefa39ef
	v_rndne_f64_e32 v[6:7], v[6:7]
	s_mov_b32 s15, 0xbfe62e42
	v_fma_f64 v[10:11], v[6:7], s[14:15], -v[22:23]
	s_mov_b32 s14, 0x3b39803f
	s_mov_b32 s15, 0xbc7abc9e
	v_fmac_f64_e32 v[10:11], s[14:15], v[6:7]
	s_mov_b32 s14, 0x6a5dcb37
	s_mov_b32 s15, 0x3e5ade15
	v_fmac_f64_e32 v[12:13], s[14:15], v[10:11]
	v_mov_b32_e32 v25, 0x3ec71dee
	v_fmac_f64_e32 v[24:25], v[10:11], v[12:13]
	v_mov_b32_e32 v12, 0x7c89e6b0
	v_mov_b32_e32 v13, 0x3efa0199
	v_fmac_f64_e32 v[12:13], v[10:11], v[24:25]
	v_mov_b32_e32 v24, 0x14761f6e
	;; [unrolled: 3-line block ×7, first 2 shown]
	v_mov_b32_e32 v13, 0x3fe00000
	v_fmac_f64_e32 v[12:13], v[10:11], v[24:25]
	s_mov_b32 s14, 0
	v_fma_f64 v[12:13], v[10:11], v[12:13], 1.0
	s_mov_b32 s15, 0x4090cc00
	v_fma_f64 v[10:11], v[10:11], v[12:13], 1.0
	v_cvt_i32_f64_e32 v6, v[6:7]
	v_cmp_nlt_f64_e32 vcc, s[14:15], v[22:23]
	s_mov_b32 s14, 0
	v_ldexp_f64 v[6:7], v[10:11], v6
	s_brev_b32 s15, 8
	v_cndmask_b32_e32 v7, 0, v7, vcc
	v_cndmask_b32_e32 v6, 0, v6, vcc
	v_cmp_gt_f64_e32 vcc, s[14:15], v[22:23]
	v_cndmask_b32_e64 v10, 0, 1, vcc
	v_lshlrev_b32_e32 v10, 8, v10
	v_ldexp_f64 v[10:11], v[22:23], v10
	v_rsq_f64_e32 v[12:13], v[10:11]
	v_add_f64 v[2:3], v[2:3], -v[8:9]
	v_mul_f64 v[2:3], v[2:3], 0.5
	v_mul_f64 v[2:3], v[6:7], v[2:3]
	v_mul_f64 v[6:7], v[10:11], v[12:13]
	v_mul_f64 v[8:9], v[12:13], 0.5
	v_fma_f64 v[12:13], -v[8:9], v[6:7], 0.5
	v_fmac_f64_e32 v[6:7], v[6:7], v[12:13]
	v_fma_f64 v[22:23], -v[6:7], v[6:7], v[10:11]
	v_fmac_f64_e32 v[8:9], v[8:9], v[12:13]
	v_fmac_f64_e32 v[6:7], v[22:23], v[8:9]
	v_fma_f64 v[12:13], -v[6:7], v[6:7], v[10:11]
	v_fmac_f64_e32 v[6:7], v[12:13], v[8:9]
	v_mov_b32_e32 v8, 0xffffff80
	v_cndmask_b32_e32 v8, 0, v8, vcc
	v_ldexp_f64 v[6:7], v[6:7], v8
	v_mov_b32_e32 v8, 0x260
	v_cmp_class_f64_e32 vcc, v[10:11], v8
	v_cndmask_b32_e32 v7, v7, v11, vcc
	v_cndmask_b32_e32 v6, v6, v10, vcc
	v_div_scale_f64 v[8:9], s[14:15], v[6:7], v[6:7], v[2:3]
	v_rcp_f64_e32 v[10:11], v[8:9]
	v_fma_f64 v[12:13], -v[8:9], v[10:11], 1.0
	v_fmac_f64_e32 v[10:11], v[10:11], v[12:13]
	v_fma_f64 v[12:13], -v[8:9], v[10:11], 1.0
	v_fmac_f64_e32 v[10:11], v[10:11], v[12:13]
	v_div_scale_f64 v[12:13], vcc, v[2:3], v[6:7], v[2:3]
	v_mul_f64 v[22:23], v[12:13], v[10:11]
	v_fma_f64 v[8:9], -v[8:9], v[22:23], v[12:13]
	s_nop 1
	v_div_fmas_f64 v[8:9], v[8:9], v[10:11], v[22:23]
	v_div_fixup_f64 v[6:7], v[8:9], v[6:7], v[2:3]
.LBB0_19:
	s_or_b64 exec, exec, s[12:13]
.LBB0_20:
	s_or_b64 exec, exec, s[10:11]
.LBB0_21:
	s_or_b64 exec, exec, s[8:9]
.LBB0_22:
	s_or_b64 exec, exec, s[6:7]
	s_waitcnt vmcnt(0) lgkmcnt(0)
	v_add_u32_e32 v22, 0x100, v5
	v_cmp_lt_i32_e32 vcc, v22, v4
	s_and_saveexec_b64 s[6:7], vcc
	s_cbranch_execz .LBB0_36
; %bb.23:
	v_mov_b32_e32 v8, 0
	v_cmp_neq_f64_e32 vcc, 0, v[20:21]
	v_mov_b32_e32 v9, 0x7ff00000
	s_and_saveexec_b64 s[8:9], vcc
	s_cbranch_execz .LBB0_35
; %bb.24:
	v_mov_b32_e32 v8, 0
	v_cmp_ngt_f64_e32 vcc, 0, v[20:21]
	v_mov_b32_e32 v9, 0x7ff80000
	s_and_saveexec_b64 s[10:11], vcc
	s_cbranch_execz .LBB0_34
; %bb.25:
	v_cmp_ge_f64_e32 vcc, 2.0, v[20:21]
	s_and_saveexec_b64 s[12:13], vcc
	s_xor_b64 s[12:13], exec, s[12:13]
	s_cbranch_execz .LBB0_31
; %bb.26:
	s_mov_b32 s14, 0
	s_mov_b32 s15, 0x40200000
	v_mul_f64 v[2:3], v[20:21], 0.5
	v_cmp_ge_f64_e32 vcc, s[14:15], v[20:21]
                                        ; implicit-def: $vgpr8_vgpr9
	s_and_saveexec_b64 s[14:15], vcc
	s_xor_b64 s[14:15], exec, s[14:15]
	s_cbranch_execz .LBB0_28
; %bb.27:
	s_mov_b32 s18, 0x2134d0ef
	v_add_f64 v[8:9], v[2:3], -2.0
	v_mov_b32_e32 v24, 0x977da589
	v_mov_b32_e32 v25, 0x3c833362
	s_mov_b32 s19, 0xbc545cb7
	v_fmac_f64_e32 v[24:25], s[18:19], v[8:9]
	v_mov_b32_e32 v26, 0x2134d0ef
	v_mov_b32_e32 v27, 0x3c545cb7
	s_mov_b32 s18, 0x721ebbb4
	v_fmac_f64_e32 v[26:27], v[8:9], v[24:25]
	s_mov_b32 s19, 0xbcb184eb
	v_add_f64 v[26:27], v[26:27], s[18:19]
	s_mov_b32 s18, 0x93f65eba
	v_fma_f64 v[24:25], v[8:9], v[26:27], -v[24:25]
	s_mov_b32 s19, 0x3cdee6d8
	v_add_f64 v[24:25], v[24:25], s[18:19]
	s_mov_b32 s18, 0xc297fbeb
	v_fma_f64 v[26:27], v[8:9], v[24:25], -v[26:27]
	;; [unrolled: 4-line block ×27, first 2 shown]
	s_mov_b32 s19, 0x3fe5a84e
	v_add_f64 v[8:9], v[8:9], s[18:19]
	s_mov_b32 s18, 0x652b82fe
	s_mov_b32 s19, 0x3ff71547
	v_mul_f64 v[26:27], v[20:21], s[18:19]
	s_mov_b32 s18, 0xfefa39ef
	v_rndne_f64_e32 v[26:27], v[26:27]
	s_mov_b32 s19, 0xbfe62e42
	v_fma_f64 v[28:29], s[18:19], v[26:27], v[20:21]
	s_mov_b32 s18, 0x3b39803f
	s_mov_b32 s19, 0xbc7abc9e
	v_fmac_f64_e32 v[28:29], s[18:19], v[26:27]
	s_mov_b32 s18, 0x6a5dcb37
	v_mov_b32_e32 v30, 0xfca7ab0c
	v_mov_b32_e32 v31, 0x3e928af3
	s_mov_b32 s19, 0x3e5ade15
	v_fmac_f64_e32 v[30:31], s[18:19], v[28:29]
	v_mov_b32_e32 v32, 0x623fde64
	v_mov_b32_e32 v33, 0x3ec71dee
	v_fmac_f64_e32 v[32:33], v[28:29], v[30:31]
	v_mov_b32_e32 v30, 0x7c89e6b0
	v_mov_b32_e32 v31, 0x3efa0199
	;; [unrolled: 3-line block ×8, first 2 shown]
	v_fmac_f64_e32 v[30:31], v[28:29], v[32:33]
	v_fma_f64 v[30:31], v[28:29], v[30:31], 1.0
	s_mov_b32 s18, 0
	v_fma_f64 v[28:29], v[28:29], v[30:31], 1.0
	v_cvt_i32_f64_e32 v15, v[26:27]
	s_mov_b32 s19, 0x40900000
	v_ldexp_f64 v[26:27], v[28:29], v15
	v_mov_b32_e32 v15, 0x7ff00000
	v_cmp_nlt_f64_e32 vcc, s[18:19], v[20:21]
	v_add_f64 v[8:9], v[8:9], -v[24:25]
	v_cndmask_b32_e32 v27, v15, v27, vcc
	v_cndmask_b32_e32 v26, 0, v26, vcc
	v_mul_f64 v[8:9], v[8:9], 0.5
	v_mul_f64 v[8:9], v[26:27], v[8:9]
.LBB0_28:
	s_andn2_saveexec_b64 s[14:15], s[14:15]
	s_cbranch_execz .LBB0_30
; %bb.29:
	s_mov_b32 s18, 0
	s_mov_b32 s19, 0x40400000
	v_div_scale_f64 v[8:9], s[20:21], v[20:21], v[20:21], s[18:19]
	v_rcp_f64_e32 v[24:25], v[8:9]
	v_mov_b32_e32 v30, 0xfca7ab0c
	v_mov_b32_e32 v31, 0x3e928af3
	;; [unrolled: 1-line block ×3, first 2 shown]
	v_fma_f64 v[26:27], -v[8:9], v[24:25], 1.0
	v_fmac_f64_e32 v[24:25], v[24:25], v[26:27]
	v_fma_f64 v[26:27], -v[8:9], v[24:25], 1.0
	v_fmac_f64_e32 v[24:25], v[24:25], v[26:27]
	v_div_scale_f64 v[26:27], vcc, s[18:19], v[20:21], s[18:19]
	v_mul_f64 v[28:29], v[26:27], v[24:25]
	v_fma_f64 v[8:9], -v[8:9], v[28:29], v[26:27]
	v_mov_b32_e32 v26, 0x54ca8b19
	s_nop 0
	v_div_fmas_f64 v[8:9], v[8:9], v[24:25], v[28:29]
	v_div_fixup_f64 v[8:9], v[8:9], v[20:21], s[18:19]
	s_mov_b32 s18, 0x54ca8b19
	v_add_f64 v[8:9], v[8:9], -2.0
	v_mov_b32_e32 v24, 0x66119130
	v_mov_b32_e32 v25, 0xbc5646da
	s_mov_b32 s19, 0xbc60adb7
	v_fmac_f64_e32 v[24:25], s[18:19], v[8:9]
	v_mov_b32_e32 v27, 0x3c60adb7
	s_mov_b32 s18, 0x12d98421
	v_fmac_f64_e32 v[26:27], v[8:9], v[24:25]
	s_mov_b32 s19, 0x3c89be18
	v_add_f64 v[26:27], v[26:27], s[18:19]
	s_mov_b32 s18, 0x76041cd
	v_fma_f64 v[24:25], v[8:9], v[26:27], -v[24:25]
	s_mov_b32 s19, 0x3c83f3dd
	v_add_f64 v[24:25], v[24:25], s[18:19]
	s_mov_b32 s18, 0xabd21fe4
	v_fma_f64 v[26:27], v[8:9], v[24:25], -v[26:27]
	;; [unrolled: 4-line block ×22, first 2 shown]
	s_mov_b32 s19, 0x3fe9be62
	v_add_f64 v[8:9], v[8:9], s[18:19]
	s_mov_b32 s18, 0x652b82fe
	s_mov_b32 s19, 0x3ff71547
	v_mul_f64 v[24:25], v[20:21], s[18:19]
	s_mov_b32 s18, 0xfefa39ef
	v_rndne_f64_e32 v[24:25], v[24:25]
	s_mov_b32 s19, 0xbfe62e42
	v_fma_f64 v[28:29], s[18:19], v[24:25], v[20:21]
	s_mov_b32 s18, 0x3b39803f
	s_mov_b32 s19, 0xbc7abc9e
	v_fmac_f64_e32 v[28:29], s[18:19], v[24:25]
	s_mov_b32 s18, 0x6a5dcb37
	s_mov_b32 s19, 0x3e5ade15
	v_fmac_f64_e32 v[30:31], s[18:19], v[28:29]
	v_mov_b32_e32 v33, 0x3ec71dee
	v_fmac_f64_e32 v[32:33], v[28:29], v[30:31]
	v_mov_b32_e32 v30, 0x7c89e6b0
	v_mov_b32_e32 v31, 0x3efa0199
	v_fmac_f64_e32 v[30:31], v[28:29], v[32:33]
	v_mov_b32_e32 v32, 0x14761f6e
	;; [unrolled: 3-line block ×7, first 2 shown]
	v_mov_b32_e32 v31, 0x3fe00000
	v_fmac_f64_e32 v[30:31], v[28:29], v[32:33]
	s_mov_b32 s18, 0
	v_fma_f64 v[30:31], v[28:29], v[30:31], 1.0
	s_mov_b32 s19, 0x40900000
	v_fma_f64 v[28:29], v[28:29], v[30:31], 1.0
	v_cvt_i32_f64_e32 v15, v[24:25]
	v_cmp_nlt_f64_e32 vcc, s[18:19], v[20:21]
	s_mov_b32 s18, 0
	v_ldexp_f64 v[24:25], v[28:29], v15
	v_mov_b32_e32 v15, 0x7ff00000
	s_brev_b32 s19, 8
	v_cndmask_b32_e32 v25, v15, v25, vcc
	v_cndmask_b32_e32 v24, 0, v24, vcc
	v_cmp_gt_f64_e32 vcc, s[18:19], v[20:21]
	v_cndmask_b32_e64 v15, 0, 1, vcc
	v_lshlrev_b32_e32 v15, 8, v15
	v_ldexp_f64 v[28:29], v[20:21], v15
	v_rsq_f64_e32 v[30:31], v[28:29]
	v_add_f64 v[8:9], v[8:9], -v[26:27]
	v_mul_f64 v[8:9], v[8:9], 0.5
	v_mul_f64 v[8:9], v[24:25], v[8:9]
	v_mul_f64 v[24:25], v[28:29], v[30:31]
	v_mul_f64 v[26:27], v[30:31], 0.5
	v_fma_f64 v[30:31], -v[26:27], v[24:25], 0.5
	v_fmac_f64_e32 v[24:25], v[24:25], v[30:31]
	v_fma_f64 v[32:33], -v[24:25], v[24:25], v[28:29]
	v_fmac_f64_e32 v[26:27], v[26:27], v[30:31]
	v_fmac_f64_e32 v[24:25], v[32:33], v[26:27]
	v_fma_f64 v[30:31], -v[24:25], v[24:25], v[28:29]
	v_mov_b32_e32 v15, 0xffffff80
	v_fmac_f64_e32 v[24:25], v[30:31], v[26:27]
	v_cndmask_b32_e32 v15, 0, v15, vcc
	v_ldexp_f64 v[24:25], v[24:25], v15
	v_mov_b32_e32 v15, 0x260
	v_cmp_class_f64_e32 vcc, v[28:29], v15
	v_cndmask_b32_e32 v25, v25, v29, vcc
	v_cndmask_b32_e32 v24, v24, v28, vcc
	v_div_scale_f64 v[26:27], s[18:19], v[24:25], v[24:25], v[8:9]
	v_rcp_f64_e32 v[28:29], v[26:27]
	v_fma_f64 v[30:31], -v[26:27], v[28:29], 1.0
	v_fmac_f64_e32 v[28:29], v[28:29], v[30:31]
	v_fma_f64 v[30:31], -v[26:27], v[28:29], 1.0
	v_fmac_f64_e32 v[28:29], v[28:29], v[30:31]
	v_div_scale_f64 v[30:31], vcc, v[8:9], v[24:25], v[8:9]
	v_mul_f64 v[32:33], v[30:31], v[28:29]
	v_fma_f64 v[26:27], -v[26:27], v[32:33], v[30:31]
	s_nop 1
	v_div_fmas_f64 v[26:27], v[26:27], v[28:29], v[32:33]
	v_div_fixup_f64 v[8:9], v[26:27], v[24:25], v[8:9]
.LBB0_30:
	s_or_b64 exec, exec, s[14:15]
	s_mov_b32 s14, 0xe6a7fd77
	v_fma_f64 v[20:21], v[20:21], v[20:21], -2.0
	v_mov_b32_e32 v24, 0xc384c2aa
	v_mov_b32_e32 v25, 0x3d27fb0a
	s_mov_b32 s15, 0x3ca3cee1
	v_fmac_f64_e32 v[24:25], s[14:15], v[20:21]
	v_mov_b32_e32 v26, 0xe6a7fd77
	v_mov_b32_e32 v27, 0xbca3cee1
	s_mov_b32 s14, 0x47512144
	v_fmac_f64_e32 v[26:27], v[20:21], v[24:25]
	s_mov_b32 s15, 0x3da6c25c
	v_add_f64 v[26:27], v[26:27], s[14:15]
	s_mov_b32 s14, 0x67e58a13
	v_fma_f64 v[24:25], v[20:21], v[26:27], -v[24:25]
	s_mov_b32 s15, 0x3e205c13
	v_add_f64 v[24:25], v[24:25], s[14:15]
	s_mov_b32 s14, 0xe7f95efc
	v_fma_f64 v[26:27], v[20:21], v[24:25], -v[26:27]
	;; [unrolled: 4-line block ×7, first 2 shown]
	s_mov_b32 s15, 0xbfe12166
	v_add_f64 v[20:21], v[20:21], s[14:15]
	s_mov_b32 s14, 0x55555555
	v_add_f64 v[20:21], v[20:21], -v[24:25]
	v_frexp_mant_f64_e32 v[24:25], v[2:3]
	s_mov_b32 s15, 0x3fe55555
	v_mov_b32_e32 v23, 0x3ff00000
	v_cmp_gt_f64_e32 vcc, s[14:15], v[24:25]
	v_cndmask_b32_e64 v27, v23, 2.0, vcc
	v_mov_b32_e32 v26, 0
	v_mul_f64 v[24:25], v[24:25], v[26:27]
	v_add_f64 v[26:27], v[24:25], 1.0
	v_rcp_f64_e32 v[28:29], v[26:27]
	v_add_f64 v[32:33], v[26:27], -1.0
	v_add_f64 v[30:31], v[24:25], -1.0
	v_add_f64 v[24:25], v[24:25], -v[32:33]
	v_fma_f64 v[32:33], -v[26:27], v[28:29], 1.0
	v_fmac_f64_e32 v[28:29], v[32:33], v[28:29]
	v_fma_f64 v[32:33], -v[26:27], v[28:29], 1.0
	v_fmac_f64_e32 v[28:29], v[32:33], v[28:29]
	v_mul_f64 v[32:33], v[30:31], v[28:29]
	v_mul_f64 v[34:35], v[26:27], v[32:33]
	v_fma_f64 v[26:27], v[32:33], v[26:27], -v[34:35]
	v_fmac_f64_e32 v[26:27], v[32:33], v[24:25]
	v_add_f64 v[24:25], v[34:35], v[26:27]
	v_add_f64 v[36:37], v[30:31], -v[24:25]
	v_add_f64 v[34:35], v[24:25], -v[34:35]
	;; [unrolled: 1-line block ×5, first 2 shown]
	v_add_f64 v[24:25], v[26:27], v[24:25]
	v_add_f64 v[24:25], v[36:37], v[24:25]
	v_mul_f64 v[24:25], v[28:29], v[24:25]
	v_add_f64 v[26:27], v[32:33], v[24:25]
	v_add_f64 v[28:29], v[26:27], -v[32:33]
	s_mov_b32 s14, 0xbf559e2b
	v_add_f64 v[24:25], v[24:25], -v[28:29]
	v_mul_f64 v[28:29], v[26:27], v[26:27]
	v_mov_b32_e32 v30, 0x6b47b09a
	v_mov_b32_e32 v31, 0x3fc38538
	s_mov_b32 s15, 0x3fc3ab76
	v_fmac_f64_e32 v[30:31], s[14:15], v[28:29]
	v_mov_b32_e32 v32, 0xd7f4df2e
	v_mov_b32_e32 v33, 0x3fc7474d
	v_fmac_f64_e32 v[32:33], v[28:29], v[30:31]
	v_mov_b32_e32 v30, 0x16291751
	v_mov_b32_e32 v31, 0x3fcc71c0
	;; [unrolled: 3-line block ×5, first 2 shown]
	v_fmac_f64_e32 v[32:33], v[28:29], v[30:31]
	v_ldexp_f64 v[30:31], v[26:27], 1
	v_mul_f64 v[26:27], v[26:27], v[28:29]
	v_mul_f64 v[26:27], v[26:27], v[32:33]
	v_add_f64 v[28:29], v[30:31], v[26:27]
	v_add_f64 v[30:31], v[28:29], -v[30:31]
	v_ldexp_f64 v[24:25], v[24:25], 1
	v_add_f64 v[26:27], v[26:27], -v[30:31]
	v_add_f64 v[24:25], v[24:25], v[26:27]
	v_frexp_exp_i32_f64_e32 v15, v[2:3]
	v_add_f64 v[26:27], v[28:29], v[24:25]
	v_subbrev_co_u32_e32 v15, vcc, 0, v15, vcc
	v_add_f64 v[28:29], v[26:27], -v[28:29]
	s_mov_b32 s14, 0xfefa39ef
	v_add_f64 v[24:25], v[24:25], -v[28:29]
	v_cvt_f64_i32_e32 v[28:29], v15
	s_mov_b32 s15, 0x3fe62e42
	v_mul_f64 v[30:31], v[28:29], s[14:15]
	v_fma_f64 v[32:33], v[28:29], s[14:15], -v[30:31]
	s_mov_b32 s14, 0x3b39803f
	s_mov_b32 s15, 0x3c7abc9e
	v_fmac_f64_e32 v[32:33], s[14:15], v[28:29]
	v_add_f64 v[28:29], v[30:31], v[32:33]
	v_add_f64 v[30:31], v[28:29], -v[30:31]
	v_add_f64 v[30:31], v[32:33], -v[30:31]
	v_add_f64 v[32:33], v[28:29], v[26:27]
	v_add_f64 v[34:35], v[32:33], -v[28:29]
	v_add_f64 v[36:37], v[32:33], -v[34:35]
	;; [unrolled: 1-line block ×4, first 2 shown]
	v_add_f64 v[26:27], v[26:27], v[28:29]
	v_add_f64 v[28:29], v[30:31], v[24:25]
	v_add_f64 v[34:35], v[28:29], -v[30:31]
	v_add_f64 v[36:37], v[28:29], -v[34:35]
	v_add_f64 v[26:27], v[28:29], v[26:27]
	v_add_f64 v[30:31], v[30:31], -v[36:37]
	v_add_f64 v[24:25], v[24:25], -v[34:35]
	v_add_f64 v[28:29], v[32:33], v[26:27]
	v_add_f64 v[24:25], v[24:25], v[30:31]
	v_add_f64 v[30:31], v[28:29], -v[32:33]
	v_add_f64 v[26:27], v[26:27], -v[30:31]
	s_mov_b32 s14, 0
	v_add_f64 v[24:25], v[24:25], v[26:27]
	s_mov_b32 s15, 0x7ff00000
	v_add_f64 v[24:25], v[28:29], v[24:25]
	v_cmp_eq_f64_e32 vcc, s[14:15], v[2:3]
	v_cndmask_b32_e32 v15, v24, v2, vcc
	v_cndmask_b32_e32 v23, v25, v3, vcc
	v_mov_b32_e32 v24, 0xfff00000
	v_cmp_neq_f64_e32 vcc, 0, v[2:3]
	v_cndmask_b32_e32 v3, v24, v23, vcc
	v_cndmask_b32_e32 v2, 0, v15, vcc
	v_mul_f64 v[2:3], v[2:3], v[8:9]
	v_fma_f64 v[8:9], v[20:21], 0.5, -v[2:3]
                                        ; implicit-def: $vgpr20_vgpr21
.LBB0_31:
	s_andn2_saveexec_b64 s[12:13], s[12:13]
	s_cbranch_execz .LBB0_33
; %bb.32:
	s_mov_b32 s14, 0
	s_mov_b32 s15, 0x40200000
	v_div_scale_f64 v[2:3], s[18:19], v[20:21], v[20:21], s[14:15]
	v_rcp_f64_e32 v[8:9], v[2:3]
	v_mov_b32_e32 v28, 0xfca7ab0c
	v_mov_b32_e32 v29, 0x3e928af3
	v_mov_b32_e32 v30, 0x623fde64
	v_fma_f64 v[24:25], -v[2:3], v[8:9], 1.0
	v_fmac_f64_e32 v[8:9], v[8:9], v[24:25]
	v_fma_f64 v[24:25], -v[2:3], v[8:9], 1.0
	v_fmac_f64_e32 v[8:9], v[8:9], v[24:25]
	v_div_scale_f64 v[24:25], vcc, s[14:15], v[20:21], s[14:15]
	v_mul_f64 v[26:27], v[24:25], v[8:9]
	v_fma_f64 v[2:3], -v[2:3], v[26:27], v[24:25]
	v_mov_b32_e32 v24, 0xcf8c9ee1
	s_nop 0
	v_div_fmas_f64 v[2:3], v[2:3], v[8:9], v[26:27]
	v_div_fixup_f64 v[2:3], v[2:3], v[20:21], s[14:15]
	s_mov_b32 s14, 0xcf8c9ee1
	v_add_f64 v[2:3], v[2:3], -2.0
	v_mov_b32_e32 v8, 0x93812603
	v_mov_b32_e32 v9, 0xbc72fecc
	s_mov_b32 s15, 0x3c5871a5
	v_fmac_f64_e32 v[8:9], s[14:15], v[2:3]
	v_mov_b32_e32 v25, 0xbc5871a5
	s_mov_b32 s14, 0x41a8cdf4
	v_fmac_f64_e32 v[24:25], v[2:3], v[8:9]
	s_mov_b32 s15, 0x3c8e092e
	v_add_f64 v[24:25], v[24:25], s[14:15]
	s_mov_b32 s14, 0x74d77641
	v_fma_f64 v[8:9], v[2:3], v[24:25], -v[8:9]
	s_mov_b32 s15, 0xbca82f94
	v_add_f64 v[8:9], v[8:9], s[14:15]
	s_mov_b32 s14, 0x6b94785b
	v_fma_f64 v[24:25], v[2:3], v[8:9], -v[24:25]
	;; [unrolled: 4-line block ×22, first 2 shown]
	s_mov_b32 s15, 0x400385bd
	v_add_f64 v[2:3], v[2:3], s[14:15]
	s_mov_b32 s14, 0x652b82fe
	s_mov_b32 s15, 0xbff71547
	v_mul_f64 v[8:9], v[20:21], s[14:15]
	s_mov_b32 s14, 0xfefa39ef
	v_rndne_f64_e32 v[8:9], v[8:9]
	s_mov_b32 s15, 0xbfe62e42
	v_fma_f64 v[26:27], v[8:9], s[14:15], -v[20:21]
	s_mov_b32 s14, 0x3b39803f
	s_mov_b32 s15, 0xbc7abc9e
	v_fmac_f64_e32 v[26:27], s[14:15], v[8:9]
	s_mov_b32 s14, 0x6a5dcb37
	s_mov_b32 s15, 0x3e5ade15
	v_fmac_f64_e32 v[28:29], s[14:15], v[26:27]
	v_mov_b32_e32 v31, 0x3ec71dee
	v_fmac_f64_e32 v[30:31], v[26:27], v[28:29]
	v_mov_b32_e32 v28, 0x7c89e6b0
	v_mov_b32_e32 v29, 0x3efa0199
	v_fmac_f64_e32 v[28:29], v[26:27], v[30:31]
	v_mov_b32_e32 v30, 0x14761f6e
	;; [unrolled: 3-line block ×7, first 2 shown]
	v_mov_b32_e32 v29, 0x3fe00000
	v_fmac_f64_e32 v[28:29], v[26:27], v[30:31]
	s_mov_b32 s14, 0
	v_fma_f64 v[28:29], v[26:27], v[28:29], 1.0
	s_mov_b32 s15, 0x4090cc00
	v_fma_f64 v[26:27], v[26:27], v[28:29], 1.0
	v_cvt_i32_f64_e32 v8, v[8:9]
	v_cmp_nlt_f64_e32 vcc, s[14:15], v[20:21]
	s_mov_b32 s14, 0
	v_ldexp_f64 v[8:9], v[26:27], v8
	s_brev_b32 s15, 8
	v_cndmask_b32_e32 v9, 0, v9, vcc
	v_cndmask_b32_e32 v8, 0, v8, vcc
	v_cmp_gt_f64_e32 vcc, s[14:15], v[20:21]
	v_cndmask_b32_e64 v15, 0, 1, vcc
	v_lshlrev_b32_e32 v15, 8, v15
	v_ldexp_f64 v[20:21], v[20:21], v15
	v_rsq_f64_e32 v[26:27], v[20:21]
	v_add_f64 v[2:3], v[2:3], -v[24:25]
	v_mul_f64 v[2:3], v[2:3], 0.5
	v_mul_f64 v[2:3], v[8:9], v[2:3]
	v_mul_f64 v[8:9], v[20:21], v[26:27]
	v_mul_f64 v[24:25], v[26:27], 0.5
	v_fma_f64 v[26:27], -v[24:25], v[8:9], 0.5
	v_fmac_f64_e32 v[8:9], v[8:9], v[26:27]
	v_fma_f64 v[28:29], -v[8:9], v[8:9], v[20:21]
	v_fmac_f64_e32 v[24:25], v[24:25], v[26:27]
	v_fmac_f64_e32 v[8:9], v[28:29], v[24:25]
	v_fma_f64 v[26:27], -v[8:9], v[8:9], v[20:21]
	v_mov_b32_e32 v15, 0xffffff80
	v_fmac_f64_e32 v[8:9], v[26:27], v[24:25]
	v_cndmask_b32_e32 v15, 0, v15, vcc
	v_ldexp_f64 v[8:9], v[8:9], v15
	v_mov_b32_e32 v15, 0x260
	v_cmp_class_f64_e32 vcc, v[20:21], v15
	v_cndmask_b32_e32 v9, v9, v21, vcc
	v_cndmask_b32_e32 v8, v8, v20, vcc
	v_div_scale_f64 v[20:21], s[14:15], v[8:9], v[8:9], v[2:3]
	v_rcp_f64_e32 v[24:25], v[20:21]
	v_fma_f64 v[26:27], -v[20:21], v[24:25], 1.0
	v_fmac_f64_e32 v[24:25], v[24:25], v[26:27]
	v_fma_f64 v[26:27], -v[20:21], v[24:25], 1.0
	v_fmac_f64_e32 v[24:25], v[24:25], v[26:27]
	v_div_scale_f64 v[26:27], vcc, v[2:3], v[8:9], v[2:3]
	v_mul_f64 v[28:29], v[26:27], v[24:25]
	v_fma_f64 v[20:21], -v[20:21], v[28:29], v[26:27]
	s_nop 1
	v_div_fmas_f64 v[20:21], v[20:21], v[24:25], v[28:29]
	v_div_fixup_f64 v[8:9], v[20:21], v[8:9], v[2:3]
.LBB0_33:
	s_or_b64 exec, exec, s[12:13]
.LBB0_34:
	s_or_b64 exec, exec, s[10:11]
.LBB0_35:
	s_or_b64 exec, exec, s[8:9]
.LBB0_36:
	s_or_b64 exec, exec, s[6:7]
	v_add_u32_e32 v2, 0x200, v5
	v_cmp_lt_i32_e32 vcc, v2, v4
	s_and_saveexec_b64 s[6:7], vcc
	s_cbranch_execz .LBB0_50
; %bb.37:
	v_mov_b32_e32 v10, 0
	v_cmp_neq_f64_e32 vcc, 0, v[18:19]
	v_mov_b32_e32 v11, 0x7ff00000
	s_and_saveexec_b64 s[8:9], vcc
	s_cbranch_execz .LBB0_49
; %bb.38:
	v_mov_b32_e32 v10, 0
	v_cmp_ngt_f64_e32 vcc, 0, v[18:19]
	v_mov_b32_e32 v11, 0x7ff80000
	s_and_saveexec_b64 s[10:11], vcc
	s_cbranch_execz .LBB0_48
; %bb.39:
	v_cmp_ge_f64_e32 vcc, 2.0, v[18:19]
	s_and_saveexec_b64 s[12:13], vcc
	s_xor_b64 s[12:13], exec, s[12:13]
	s_cbranch_execz .LBB0_45
; %bb.40:
	s_mov_b32 s14, 0
	s_mov_b32 s15, 0x40200000
	v_mul_f64 v[2:3], v[18:19], 0.5
	v_cmp_ge_f64_e32 vcc, s[14:15], v[18:19]
                                        ; implicit-def: $vgpr10_vgpr11
	s_and_saveexec_b64 s[14:15], vcc
	s_xor_b64 s[14:15], exec, s[14:15]
	s_cbranch_execz .LBB0_42
; %bb.41:
	s_mov_b32 s18, 0x2134d0ef
	v_add_f64 v[10:11], v[2:3], -2.0
	v_mov_b32_e32 v20, 0x977da589
	v_mov_b32_e32 v21, 0x3c833362
	s_mov_b32 s19, 0xbc545cb7
	v_fmac_f64_e32 v[20:21], s[18:19], v[10:11]
	v_mov_b32_e32 v24, 0x2134d0ef
	v_mov_b32_e32 v25, 0x3c545cb7
	s_mov_b32 s18, 0x721ebbb4
	v_fmac_f64_e32 v[24:25], v[10:11], v[20:21]
	s_mov_b32 s19, 0xbcb184eb
	v_add_f64 v[24:25], v[24:25], s[18:19]
	s_mov_b32 s18, 0x93f65eba
	v_fma_f64 v[20:21], v[10:11], v[24:25], -v[20:21]
	s_mov_b32 s19, 0x3cdee6d8
	v_add_f64 v[20:21], v[20:21], s[18:19]
	s_mov_b32 s18, 0xc297fbeb
	v_fma_f64 v[24:25], v[10:11], v[20:21], -v[24:25]
	;; [unrolled: 4-line block ×27, first 2 shown]
	s_mov_b32 s19, 0x3fe5a84e
	v_add_f64 v[10:11], v[10:11], s[18:19]
	s_mov_b32 s18, 0x652b82fe
	s_mov_b32 s19, 0x3ff71547
	v_mul_f64 v[24:25], v[18:19], s[18:19]
	s_mov_b32 s18, 0xfefa39ef
	v_rndne_f64_e32 v[24:25], v[24:25]
	s_mov_b32 s19, 0xbfe62e42
	v_fma_f64 v[26:27], s[18:19], v[24:25], v[18:19]
	s_mov_b32 s18, 0x3b39803f
	s_mov_b32 s19, 0xbc7abc9e
	v_fmac_f64_e32 v[26:27], s[18:19], v[24:25]
	s_mov_b32 s18, 0x6a5dcb37
	v_mov_b32_e32 v28, 0xfca7ab0c
	v_mov_b32_e32 v29, 0x3e928af3
	s_mov_b32 s19, 0x3e5ade15
	v_fmac_f64_e32 v[28:29], s[18:19], v[26:27]
	v_mov_b32_e32 v30, 0x623fde64
	v_mov_b32_e32 v31, 0x3ec71dee
	v_fmac_f64_e32 v[30:31], v[26:27], v[28:29]
	v_mov_b32_e32 v28, 0x7c89e6b0
	v_mov_b32_e32 v29, 0x3efa0199
	;; [unrolled: 3-line block ×8, first 2 shown]
	v_fmac_f64_e32 v[28:29], v[26:27], v[30:31]
	v_fma_f64 v[28:29], v[26:27], v[28:29], 1.0
	s_mov_b32 s18, 0
	v_fma_f64 v[26:27], v[26:27], v[28:29], 1.0
	v_cvt_i32_f64_e32 v15, v[24:25]
	s_mov_b32 s19, 0x40900000
	v_ldexp_f64 v[24:25], v[26:27], v15
	v_mov_b32_e32 v15, 0x7ff00000
	v_cmp_nlt_f64_e32 vcc, s[18:19], v[18:19]
	v_add_f64 v[10:11], v[10:11], -v[20:21]
	v_cndmask_b32_e32 v25, v15, v25, vcc
	v_cndmask_b32_e32 v24, 0, v24, vcc
	v_mul_f64 v[10:11], v[10:11], 0.5
	v_mul_f64 v[10:11], v[24:25], v[10:11]
.LBB0_42:
	s_andn2_saveexec_b64 s[14:15], s[14:15]
	s_cbranch_execz .LBB0_44
; %bb.43:
	s_mov_b32 s18, 0
	s_mov_b32 s19, 0x40400000
	v_div_scale_f64 v[10:11], s[20:21], v[18:19], v[18:19], s[18:19]
	v_rcp_f64_e32 v[20:21], v[10:11]
	v_mov_b32_e32 v28, 0xfca7ab0c
	v_mov_b32_e32 v29, 0x3e928af3
	;; [unrolled: 1-line block ×3, first 2 shown]
	v_fma_f64 v[24:25], -v[10:11], v[20:21], 1.0
	v_fmac_f64_e32 v[20:21], v[20:21], v[24:25]
	v_fma_f64 v[24:25], -v[10:11], v[20:21], 1.0
	v_fmac_f64_e32 v[20:21], v[20:21], v[24:25]
	v_div_scale_f64 v[24:25], vcc, s[18:19], v[18:19], s[18:19]
	v_mul_f64 v[26:27], v[24:25], v[20:21]
	v_fma_f64 v[10:11], -v[10:11], v[26:27], v[24:25]
	v_mov_b32_e32 v24, 0x54ca8b19
	s_nop 0
	v_div_fmas_f64 v[10:11], v[10:11], v[20:21], v[26:27]
	v_div_fixup_f64 v[10:11], v[10:11], v[18:19], s[18:19]
	s_mov_b32 s18, 0x54ca8b19
	v_add_f64 v[10:11], v[10:11], -2.0
	v_mov_b32_e32 v20, 0x66119130
	v_mov_b32_e32 v21, 0xbc5646da
	s_mov_b32 s19, 0xbc60adb7
	v_fmac_f64_e32 v[20:21], s[18:19], v[10:11]
	v_mov_b32_e32 v25, 0x3c60adb7
	s_mov_b32 s18, 0x12d98421
	v_fmac_f64_e32 v[24:25], v[10:11], v[20:21]
	s_mov_b32 s19, 0x3c89be18
	v_add_f64 v[24:25], v[24:25], s[18:19]
	s_mov_b32 s18, 0x76041cd
	v_fma_f64 v[20:21], v[10:11], v[24:25], -v[20:21]
	s_mov_b32 s19, 0x3c83f3dd
	v_add_f64 v[20:21], v[20:21], s[18:19]
	s_mov_b32 s18, 0xabd21fe4
	v_fma_f64 v[24:25], v[10:11], v[20:21], -v[24:25]
	;; [unrolled: 4-line block ×22, first 2 shown]
	s_mov_b32 s19, 0x3fe9be62
	v_add_f64 v[10:11], v[10:11], s[18:19]
	s_mov_b32 s18, 0x652b82fe
	s_mov_b32 s19, 0x3ff71547
	v_mul_f64 v[20:21], v[18:19], s[18:19]
	s_mov_b32 s18, 0xfefa39ef
	v_rndne_f64_e32 v[20:21], v[20:21]
	s_mov_b32 s19, 0xbfe62e42
	v_fma_f64 v[26:27], s[18:19], v[20:21], v[18:19]
	s_mov_b32 s18, 0x3b39803f
	s_mov_b32 s19, 0xbc7abc9e
	v_fmac_f64_e32 v[26:27], s[18:19], v[20:21]
	s_mov_b32 s18, 0x6a5dcb37
	s_mov_b32 s19, 0x3e5ade15
	v_fmac_f64_e32 v[28:29], s[18:19], v[26:27]
	v_mov_b32_e32 v31, 0x3ec71dee
	v_fmac_f64_e32 v[30:31], v[26:27], v[28:29]
	v_mov_b32_e32 v28, 0x7c89e6b0
	v_mov_b32_e32 v29, 0x3efa0199
	v_fmac_f64_e32 v[28:29], v[26:27], v[30:31]
	v_mov_b32_e32 v30, 0x14761f6e
	;; [unrolled: 3-line block ×7, first 2 shown]
	v_mov_b32_e32 v29, 0x3fe00000
	v_fmac_f64_e32 v[28:29], v[26:27], v[30:31]
	s_mov_b32 s18, 0
	v_fma_f64 v[28:29], v[26:27], v[28:29], 1.0
	s_mov_b32 s19, 0x40900000
	v_fma_f64 v[26:27], v[26:27], v[28:29], 1.0
	v_cvt_i32_f64_e32 v15, v[20:21]
	v_cmp_nlt_f64_e32 vcc, s[18:19], v[18:19]
	s_mov_b32 s18, 0
	v_ldexp_f64 v[20:21], v[26:27], v15
	v_mov_b32_e32 v15, 0x7ff00000
	s_brev_b32 s19, 8
	v_cndmask_b32_e32 v21, v15, v21, vcc
	v_cndmask_b32_e32 v20, 0, v20, vcc
	v_cmp_gt_f64_e32 vcc, s[18:19], v[18:19]
	v_cndmask_b32_e64 v15, 0, 1, vcc
	v_lshlrev_b32_e32 v15, 8, v15
	v_ldexp_f64 v[26:27], v[18:19], v15
	v_rsq_f64_e32 v[28:29], v[26:27]
	v_add_f64 v[10:11], v[10:11], -v[24:25]
	v_mul_f64 v[10:11], v[10:11], 0.5
	v_mul_f64 v[10:11], v[20:21], v[10:11]
	v_mul_f64 v[20:21], v[26:27], v[28:29]
	v_mul_f64 v[24:25], v[28:29], 0.5
	v_fma_f64 v[28:29], -v[24:25], v[20:21], 0.5
	v_fmac_f64_e32 v[20:21], v[20:21], v[28:29]
	v_fma_f64 v[30:31], -v[20:21], v[20:21], v[26:27]
	v_fmac_f64_e32 v[24:25], v[24:25], v[28:29]
	v_fmac_f64_e32 v[20:21], v[30:31], v[24:25]
	v_fma_f64 v[28:29], -v[20:21], v[20:21], v[26:27]
	v_mov_b32_e32 v15, 0xffffff80
	v_fmac_f64_e32 v[20:21], v[28:29], v[24:25]
	v_cndmask_b32_e32 v15, 0, v15, vcc
	v_ldexp_f64 v[20:21], v[20:21], v15
	v_mov_b32_e32 v15, 0x260
	v_cmp_class_f64_e32 vcc, v[26:27], v15
	v_cndmask_b32_e32 v21, v21, v27, vcc
	v_cndmask_b32_e32 v20, v20, v26, vcc
	v_div_scale_f64 v[24:25], s[18:19], v[20:21], v[20:21], v[10:11]
	v_rcp_f64_e32 v[26:27], v[24:25]
	v_fma_f64 v[28:29], -v[24:25], v[26:27], 1.0
	v_fmac_f64_e32 v[26:27], v[26:27], v[28:29]
	v_fma_f64 v[28:29], -v[24:25], v[26:27], 1.0
	v_fmac_f64_e32 v[26:27], v[26:27], v[28:29]
	v_div_scale_f64 v[28:29], vcc, v[10:11], v[20:21], v[10:11]
	v_mul_f64 v[30:31], v[28:29], v[26:27]
	v_fma_f64 v[24:25], -v[24:25], v[30:31], v[28:29]
	s_nop 1
	v_div_fmas_f64 v[24:25], v[24:25], v[26:27], v[30:31]
	v_div_fixup_f64 v[10:11], v[24:25], v[20:21], v[10:11]
.LBB0_44:
	s_or_b64 exec, exec, s[14:15]
	s_mov_b32 s14, 0xe6a7fd77
	v_fma_f64 v[18:19], v[18:19], v[18:19], -2.0
	v_mov_b32_e32 v20, 0xc384c2aa
	v_mov_b32_e32 v21, 0x3d27fb0a
	s_mov_b32 s15, 0x3ca3cee1
	v_fmac_f64_e32 v[20:21], s[14:15], v[18:19]
	v_mov_b32_e32 v24, 0xe6a7fd77
	v_mov_b32_e32 v25, 0xbca3cee1
	s_mov_b32 s14, 0x47512144
	v_fmac_f64_e32 v[24:25], v[18:19], v[20:21]
	s_mov_b32 s15, 0x3da6c25c
	v_add_f64 v[24:25], v[24:25], s[14:15]
	s_mov_b32 s14, 0x67e58a13
	v_fma_f64 v[20:21], v[18:19], v[24:25], -v[20:21]
	s_mov_b32 s15, 0x3e205c13
	v_add_f64 v[20:21], v[20:21], s[14:15]
	s_mov_b32 s14, 0xe7f95efc
	v_fma_f64 v[24:25], v[18:19], v[20:21], -v[24:25]
	;; [unrolled: 4-line block ×7, first 2 shown]
	s_mov_b32 s15, 0xbfe12166
	v_add_f64 v[18:19], v[18:19], s[14:15]
	s_mov_b32 s14, 0x55555555
	v_add_f64 v[18:19], v[18:19], -v[20:21]
	v_frexp_mant_f64_e32 v[20:21], v[2:3]
	s_mov_b32 s15, 0x3fe55555
	v_mov_b32_e32 v23, 0x3ff00000
	v_cmp_gt_f64_e32 vcc, s[14:15], v[20:21]
	v_cndmask_b32_e64 v25, v23, 2.0, vcc
	v_mov_b32_e32 v24, 0
	v_mul_f64 v[20:21], v[20:21], v[24:25]
	v_add_f64 v[24:25], v[20:21], 1.0
	v_rcp_f64_e32 v[26:27], v[24:25]
	v_add_f64 v[30:31], v[24:25], -1.0
	v_add_f64 v[28:29], v[20:21], -1.0
	v_add_f64 v[20:21], v[20:21], -v[30:31]
	v_fma_f64 v[30:31], -v[24:25], v[26:27], 1.0
	v_fmac_f64_e32 v[26:27], v[30:31], v[26:27]
	v_fma_f64 v[30:31], -v[24:25], v[26:27], 1.0
	v_fmac_f64_e32 v[26:27], v[30:31], v[26:27]
	v_mul_f64 v[30:31], v[28:29], v[26:27]
	v_mul_f64 v[32:33], v[24:25], v[30:31]
	v_fma_f64 v[24:25], v[30:31], v[24:25], -v[32:33]
	v_fmac_f64_e32 v[24:25], v[30:31], v[20:21]
	v_add_f64 v[20:21], v[32:33], v[24:25]
	v_add_f64 v[34:35], v[28:29], -v[20:21]
	v_add_f64 v[32:33], v[20:21], -v[32:33]
	;; [unrolled: 1-line block ×5, first 2 shown]
	v_add_f64 v[20:21], v[24:25], v[20:21]
	v_add_f64 v[20:21], v[34:35], v[20:21]
	v_mul_f64 v[20:21], v[26:27], v[20:21]
	v_add_f64 v[24:25], v[30:31], v[20:21]
	v_add_f64 v[26:27], v[24:25], -v[30:31]
	s_mov_b32 s14, 0xbf559e2b
	v_add_f64 v[20:21], v[20:21], -v[26:27]
	v_mul_f64 v[26:27], v[24:25], v[24:25]
	v_mov_b32_e32 v28, 0x6b47b09a
	v_mov_b32_e32 v29, 0x3fc38538
	s_mov_b32 s15, 0x3fc3ab76
	v_fmac_f64_e32 v[28:29], s[14:15], v[26:27]
	v_mov_b32_e32 v30, 0xd7f4df2e
	v_mov_b32_e32 v31, 0x3fc7474d
	v_fmac_f64_e32 v[30:31], v[26:27], v[28:29]
	v_mov_b32_e32 v28, 0x16291751
	v_mov_b32_e32 v29, 0x3fcc71c0
	;; [unrolled: 3-line block ×5, first 2 shown]
	v_fmac_f64_e32 v[30:31], v[26:27], v[28:29]
	v_ldexp_f64 v[28:29], v[24:25], 1
	v_mul_f64 v[24:25], v[24:25], v[26:27]
	v_mul_f64 v[24:25], v[24:25], v[30:31]
	v_add_f64 v[26:27], v[28:29], v[24:25]
	v_add_f64 v[28:29], v[26:27], -v[28:29]
	v_ldexp_f64 v[20:21], v[20:21], 1
	v_add_f64 v[24:25], v[24:25], -v[28:29]
	v_add_f64 v[20:21], v[20:21], v[24:25]
	v_frexp_exp_i32_f64_e32 v15, v[2:3]
	v_add_f64 v[24:25], v[26:27], v[20:21]
	v_subbrev_co_u32_e32 v15, vcc, 0, v15, vcc
	v_add_f64 v[26:27], v[24:25], -v[26:27]
	s_mov_b32 s14, 0xfefa39ef
	v_add_f64 v[20:21], v[20:21], -v[26:27]
	v_cvt_f64_i32_e32 v[26:27], v15
	s_mov_b32 s15, 0x3fe62e42
	v_mul_f64 v[28:29], v[26:27], s[14:15]
	v_fma_f64 v[30:31], v[26:27], s[14:15], -v[28:29]
	s_mov_b32 s14, 0x3b39803f
	s_mov_b32 s15, 0x3c7abc9e
	v_fmac_f64_e32 v[30:31], s[14:15], v[26:27]
	v_add_f64 v[26:27], v[28:29], v[30:31]
	v_add_f64 v[28:29], v[26:27], -v[28:29]
	v_add_f64 v[28:29], v[30:31], -v[28:29]
	v_add_f64 v[30:31], v[26:27], v[24:25]
	v_add_f64 v[32:33], v[30:31], -v[26:27]
	v_add_f64 v[34:35], v[30:31], -v[32:33]
	;; [unrolled: 1-line block ×4, first 2 shown]
	v_add_f64 v[24:25], v[24:25], v[26:27]
	v_add_f64 v[26:27], v[28:29], v[20:21]
	v_add_f64 v[32:33], v[26:27], -v[28:29]
	v_add_f64 v[34:35], v[26:27], -v[32:33]
	v_add_f64 v[24:25], v[26:27], v[24:25]
	v_add_f64 v[28:29], v[28:29], -v[34:35]
	v_add_f64 v[20:21], v[20:21], -v[32:33]
	v_add_f64 v[26:27], v[30:31], v[24:25]
	v_add_f64 v[20:21], v[20:21], v[28:29]
	v_add_f64 v[28:29], v[26:27], -v[30:31]
	v_add_f64 v[24:25], v[24:25], -v[28:29]
	s_mov_b32 s14, 0
	v_add_f64 v[20:21], v[20:21], v[24:25]
	s_mov_b32 s15, 0x7ff00000
	v_add_f64 v[20:21], v[26:27], v[20:21]
	v_cmp_eq_f64_e32 vcc, s[14:15], v[2:3]
	v_cndmask_b32_e32 v15, v20, v2, vcc
	v_cndmask_b32_e32 v20, v21, v3, vcc
	v_mov_b32_e32 v21, 0xfff00000
	v_cmp_neq_f64_e32 vcc, 0, v[2:3]
	v_cndmask_b32_e32 v3, v21, v20, vcc
	v_cndmask_b32_e32 v2, 0, v15, vcc
	v_mul_f64 v[2:3], v[2:3], v[10:11]
	v_fma_f64 v[10:11], v[18:19], 0.5, -v[2:3]
                                        ; implicit-def: $vgpr18_vgpr19
.LBB0_45:
	s_andn2_saveexec_b64 s[12:13], s[12:13]
	s_cbranch_execz .LBB0_47
; %bb.46:
	s_mov_b32 s14, 0
	s_mov_b32 s15, 0x40200000
	v_div_scale_f64 v[2:3], s[18:19], v[18:19], v[18:19], s[14:15]
	v_rcp_f64_e32 v[10:11], v[2:3]
	v_mov_b32_e32 v26, 0xfca7ab0c
	v_mov_b32_e32 v27, 0x3e928af3
	;; [unrolled: 1-line block ×3, first 2 shown]
	v_fma_f64 v[20:21], -v[2:3], v[10:11], 1.0
	v_fmac_f64_e32 v[10:11], v[10:11], v[20:21]
	v_fma_f64 v[20:21], -v[2:3], v[10:11], 1.0
	v_fmac_f64_e32 v[10:11], v[10:11], v[20:21]
	v_div_scale_f64 v[20:21], vcc, s[14:15], v[18:19], s[14:15]
	v_mul_f64 v[24:25], v[20:21], v[10:11]
	v_fma_f64 v[2:3], -v[2:3], v[24:25], v[20:21]
	v_mov_b32_e32 v20, 0xcf8c9ee1
	s_nop 0
	v_div_fmas_f64 v[2:3], v[2:3], v[10:11], v[24:25]
	v_div_fixup_f64 v[2:3], v[2:3], v[18:19], s[14:15]
	s_mov_b32 s14, 0xcf8c9ee1
	v_add_f64 v[2:3], v[2:3], -2.0
	v_mov_b32_e32 v10, 0x93812603
	v_mov_b32_e32 v11, 0xbc72fecc
	s_mov_b32 s15, 0x3c5871a5
	v_fmac_f64_e32 v[10:11], s[14:15], v[2:3]
	v_mov_b32_e32 v21, 0xbc5871a5
	s_mov_b32 s14, 0x41a8cdf4
	v_fmac_f64_e32 v[20:21], v[2:3], v[10:11]
	s_mov_b32 s15, 0x3c8e092e
	v_add_f64 v[20:21], v[20:21], s[14:15]
	s_mov_b32 s14, 0x74d77641
	v_fma_f64 v[10:11], v[2:3], v[20:21], -v[10:11]
	s_mov_b32 s15, 0xbca82f94
	v_add_f64 v[10:11], v[10:11], s[14:15]
	s_mov_b32 s14, 0x6b94785b
	v_fma_f64 v[20:21], v[2:3], v[10:11], -v[20:21]
	;; [unrolled: 4-line block ×22, first 2 shown]
	s_mov_b32 s15, 0x400385bd
	v_add_f64 v[2:3], v[2:3], s[14:15]
	s_mov_b32 s14, 0x652b82fe
	s_mov_b32 s15, 0xbff71547
	v_mul_f64 v[10:11], v[18:19], s[14:15]
	s_mov_b32 s14, 0xfefa39ef
	v_rndne_f64_e32 v[10:11], v[10:11]
	s_mov_b32 s15, 0xbfe62e42
	v_fma_f64 v[24:25], v[10:11], s[14:15], -v[18:19]
	s_mov_b32 s14, 0x3b39803f
	s_mov_b32 s15, 0xbc7abc9e
	v_fmac_f64_e32 v[24:25], s[14:15], v[10:11]
	s_mov_b32 s14, 0x6a5dcb37
	s_mov_b32 s15, 0x3e5ade15
	v_fmac_f64_e32 v[26:27], s[14:15], v[24:25]
	v_mov_b32_e32 v29, 0x3ec71dee
	v_fmac_f64_e32 v[28:29], v[24:25], v[26:27]
	v_mov_b32_e32 v26, 0x7c89e6b0
	v_mov_b32_e32 v27, 0x3efa0199
	v_fmac_f64_e32 v[26:27], v[24:25], v[28:29]
	v_mov_b32_e32 v28, 0x14761f6e
	;; [unrolled: 3-line block ×7, first 2 shown]
	v_mov_b32_e32 v27, 0x3fe00000
	v_fmac_f64_e32 v[26:27], v[24:25], v[28:29]
	s_mov_b32 s14, 0
	v_fma_f64 v[26:27], v[24:25], v[26:27], 1.0
	s_mov_b32 s15, 0x4090cc00
	v_fma_f64 v[24:25], v[24:25], v[26:27], 1.0
	v_cvt_i32_f64_e32 v10, v[10:11]
	v_cmp_nlt_f64_e32 vcc, s[14:15], v[18:19]
	s_mov_b32 s14, 0
	v_ldexp_f64 v[10:11], v[24:25], v10
	s_brev_b32 s15, 8
	v_cndmask_b32_e32 v11, 0, v11, vcc
	v_cndmask_b32_e32 v10, 0, v10, vcc
	v_cmp_gt_f64_e32 vcc, s[14:15], v[18:19]
	v_cndmask_b32_e64 v15, 0, 1, vcc
	v_lshlrev_b32_e32 v15, 8, v15
	v_ldexp_f64 v[18:19], v[18:19], v15
	v_rsq_f64_e32 v[24:25], v[18:19]
	v_add_f64 v[2:3], v[2:3], -v[20:21]
	v_mul_f64 v[2:3], v[2:3], 0.5
	v_mul_f64 v[2:3], v[10:11], v[2:3]
	v_mul_f64 v[10:11], v[18:19], v[24:25]
	v_mul_f64 v[20:21], v[24:25], 0.5
	v_fma_f64 v[24:25], -v[20:21], v[10:11], 0.5
	v_fmac_f64_e32 v[10:11], v[10:11], v[24:25]
	v_fma_f64 v[26:27], -v[10:11], v[10:11], v[18:19]
	v_fmac_f64_e32 v[20:21], v[20:21], v[24:25]
	v_fmac_f64_e32 v[10:11], v[26:27], v[20:21]
	v_fma_f64 v[24:25], -v[10:11], v[10:11], v[18:19]
	v_mov_b32_e32 v15, 0xffffff80
	v_fmac_f64_e32 v[10:11], v[24:25], v[20:21]
	v_cndmask_b32_e32 v15, 0, v15, vcc
	v_ldexp_f64 v[10:11], v[10:11], v15
	v_mov_b32_e32 v15, 0x260
	v_cmp_class_f64_e32 vcc, v[18:19], v15
	v_cndmask_b32_e32 v11, v11, v19, vcc
	v_cndmask_b32_e32 v10, v10, v18, vcc
	v_div_scale_f64 v[18:19], s[14:15], v[10:11], v[10:11], v[2:3]
	v_rcp_f64_e32 v[20:21], v[18:19]
	v_fma_f64 v[24:25], -v[18:19], v[20:21], 1.0
	v_fmac_f64_e32 v[20:21], v[20:21], v[24:25]
	v_fma_f64 v[24:25], -v[18:19], v[20:21], 1.0
	v_fmac_f64_e32 v[20:21], v[20:21], v[24:25]
	v_div_scale_f64 v[24:25], vcc, v[2:3], v[10:11], v[2:3]
	v_mul_f64 v[26:27], v[24:25], v[20:21]
	v_fma_f64 v[18:19], -v[18:19], v[26:27], v[24:25]
	s_nop 1
	v_div_fmas_f64 v[18:19], v[18:19], v[20:21], v[26:27]
	v_div_fixup_f64 v[10:11], v[18:19], v[10:11], v[2:3]
.LBB0_47:
	s_or_b64 exec, exec, s[12:13]
.LBB0_48:
	s_or_b64 exec, exec, s[10:11]
.LBB0_49:
	s_or_b64 exec, exec, s[8:9]
.LBB0_50:
	s_or_b64 exec, exec, s[6:7]
	v_add_u32_e32 v2, 0x300, v5
	v_cmp_lt_i32_e32 vcc, v2, v4
	s_and_saveexec_b64 s[6:7], vcc
	s_cbranch_execnz .LBB0_56
; %bb.51:
	s_or_b64 exec, exec, s[6:7]
	s_and_saveexec_b64 s[6:7], s[4:5]
	s_xor_b64 s[4:5], exec, s[6:7]
	s_cbranch_execnz .LBB0_69
.LBB0_52:
	s_or_b64 exec, exec, s[4:5]
	v_cmp_lt_i32_e32 vcc, v5, v4
	s_and_saveexec_b64 s[4:5], vcc
	s_cbranch_execnz .LBB0_70
.LBB0_53:
	s_or_b64 exec, exec, s[4:5]
	v_cmp_lt_i32_e32 vcc, v5, v4
	s_and_saveexec_b64 s[4:5], vcc
	s_cbranch_execnz .LBB0_71
.LBB0_54:
	s_or_b64 exec, exec, s[4:5]
	v_cmp_lt_i32_e32 vcc, v5, v4
	s_and_saveexec_b64 s[4:5], vcc
	s_cbranch_execnz .LBB0_72
.LBB0_55:
	s_or_b64 exec, exec, s[4:5]
	s_waitcnt vmcnt(0) lgkmcnt(0)
	s_setpc_b64 s[30:31]
.LBB0_56:
	v_mov_b32_e32 v12, 0
	v_cmp_neq_f64_e32 vcc, 0, v[16:17]
	v_mov_b32_e32 v13, 0x7ff00000
	s_and_saveexec_b64 s[8:9], vcc
	s_cbranch_execz .LBB0_68
; %bb.57:
	v_mov_b32_e32 v12, 0
	v_cmp_ngt_f64_e32 vcc, 0, v[16:17]
	v_mov_b32_e32 v13, 0x7ff80000
	s_and_saveexec_b64 s[10:11], vcc
	s_cbranch_execz .LBB0_67
; %bb.58:
	v_cmp_ge_f64_e32 vcc, 2.0, v[16:17]
	s_and_saveexec_b64 s[12:13], vcc
	s_xor_b64 s[12:13], exec, s[12:13]
	s_cbranch_execz .LBB0_64
; %bb.59:
	s_mov_b32 s14, 0
	s_mov_b32 s15, 0x40200000
	v_mul_f64 v[2:3], v[16:17], 0.5
	v_cmp_ge_f64_e32 vcc, s[14:15], v[16:17]
                                        ; implicit-def: $vgpr12_vgpr13
	s_and_saveexec_b64 s[14:15], vcc
	s_xor_b64 s[14:15], exec, s[14:15]
	s_cbranch_execz .LBB0_61
; %bb.60:
	s_mov_b32 s18, 0x2134d0ef
	v_add_f64 v[12:13], v[2:3], -2.0
	v_mov_b32_e32 v18, 0x977da589
	v_mov_b32_e32 v19, 0x3c833362
	s_mov_b32 s19, 0xbc545cb7
	v_fmac_f64_e32 v[18:19], s[18:19], v[12:13]
	v_mov_b32_e32 v20, 0x2134d0ef
	v_mov_b32_e32 v21, 0x3c545cb7
	s_mov_b32 s18, 0x721ebbb4
	v_fmac_f64_e32 v[20:21], v[12:13], v[18:19]
	s_mov_b32 s19, 0xbcb184eb
	v_add_f64 v[20:21], v[20:21], s[18:19]
	s_mov_b32 s18, 0x93f65eba
	v_fma_f64 v[18:19], v[12:13], v[20:21], -v[18:19]
	s_mov_b32 s19, 0x3cdee6d8
	v_add_f64 v[18:19], v[18:19], s[18:19]
	s_mov_b32 s18, 0xc297fbeb
	v_fma_f64 v[20:21], v[12:13], v[18:19], -v[20:21]
	;; [unrolled: 4-line block ×27, first 2 shown]
	s_mov_b32 s19, 0x3fe5a84e
	v_add_f64 v[12:13], v[12:13], s[18:19]
	s_mov_b32 s18, 0x652b82fe
	s_mov_b32 s19, 0x3ff71547
	v_mul_f64 v[20:21], v[16:17], s[18:19]
	s_mov_b32 s18, 0xfefa39ef
	v_rndne_f64_e32 v[20:21], v[20:21]
	s_mov_b32 s19, 0xbfe62e42
	v_fma_f64 v[24:25], s[18:19], v[20:21], v[16:17]
	s_mov_b32 s18, 0x3b39803f
	s_mov_b32 s19, 0xbc7abc9e
	v_fmac_f64_e32 v[24:25], s[18:19], v[20:21]
	s_mov_b32 s18, 0x6a5dcb37
	v_mov_b32_e32 v26, 0xfca7ab0c
	v_mov_b32_e32 v27, 0x3e928af3
	s_mov_b32 s19, 0x3e5ade15
	v_fmac_f64_e32 v[26:27], s[18:19], v[24:25]
	v_mov_b32_e32 v28, 0x623fde64
	v_mov_b32_e32 v29, 0x3ec71dee
	v_fmac_f64_e32 v[28:29], v[24:25], v[26:27]
	v_mov_b32_e32 v26, 0x7c89e6b0
	v_mov_b32_e32 v27, 0x3efa0199
	;; [unrolled: 3-line block ×8, first 2 shown]
	v_fmac_f64_e32 v[26:27], v[24:25], v[28:29]
	v_fma_f64 v[26:27], v[24:25], v[26:27], 1.0
	s_mov_b32 s18, 0
	v_fma_f64 v[24:25], v[24:25], v[26:27], 1.0
	v_cvt_i32_f64_e32 v15, v[20:21]
	s_mov_b32 s19, 0x40900000
	v_ldexp_f64 v[20:21], v[24:25], v15
	v_mov_b32_e32 v15, 0x7ff00000
	v_cmp_nlt_f64_e32 vcc, s[18:19], v[16:17]
	v_add_f64 v[12:13], v[12:13], -v[18:19]
	v_cndmask_b32_e32 v21, v15, v21, vcc
	v_cndmask_b32_e32 v20, 0, v20, vcc
	v_mul_f64 v[12:13], v[12:13], 0.5
	v_mul_f64 v[12:13], v[20:21], v[12:13]
.LBB0_61:
	s_andn2_saveexec_b64 s[14:15], s[14:15]
	s_cbranch_execz .LBB0_63
; %bb.62:
	s_mov_b32 s18, 0
	s_mov_b32 s19, 0x40400000
	v_div_scale_f64 v[12:13], s[20:21], v[16:17], v[16:17], s[18:19]
	v_rcp_f64_e32 v[18:19], v[12:13]
	v_mov_b32_e32 v26, 0xfca7ab0c
	v_mov_b32_e32 v27, 0x3e928af3
	;; [unrolled: 1-line block ×3, first 2 shown]
	v_fma_f64 v[20:21], -v[12:13], v[18:19], 1.0
	v_fmac_f64_e32 v[18:19], v[18:19], v[20:21]
	v_fma_f64 v[20:21], -v[12:13], v[18:19], 1.0
	v_fmac_f64_e32 v[18:19], v[18:19], v[20:21]
	v_div_scale_f64 v[20:21], vcc, s[18:19], v[16:17], s[18:19]
	v_mul_f64 v[24:25], v[20:21], v[18:19]
	v_fma_f64 v[12:13], -v[12:13], v[24:25], v[20:21]
	v_mov_b32_e32 v20, 0x54ca8b19
	s_nop 0
	v_div_fmas_f64 v[12:13], v[12:13], v[18:19], v[24:25]
	v_div_fixup_f64 v[12:13], v[12:13], v[16:17], s[18:19]
	s_mov_b32 s18, 0x54ca8b19
	v_add_f64 v[12:13], v[12:13], -2.0
	v_mov_b32_e32 v18, 0x66119130
	v_mov_b32_e32 v19, 0xbc5646da
	s_mov_b32 s19, 0xbc60adb7
	v_fmac_f64_e32 v[18:19], s[18:19], v[12:13]
	v_mov_b32_e32 v21, 0x3c60adb7
	s_mov_b32 s18, 0x12d98421
	v_fmac_f64_e32 v[20:21], v[12:13], v[18:19]
	s_mov_b32 s19, 0x3c89be18
	v_add_f64 v[20:21], v[20:21], s[18:19]
	s_mov_b32 s18, 0x76041cd
	v_fma_f64 v[18:19], v[12:13], v[20:21], -v[18:19]
	s_mov_b32 s19, 0x3c83f3dd
	v_add_f64 v[18:19], v[18:19], s[18:19]
	s_mov_b32 s18, 0xabd21fe4
	v_fma_f64 v[20:21], v[12:13], v[18:19], -v[20:21]
	;; [unrolled: 4-line block ×22, first 2 shown]
	s_mov_b32 s19, 0x3fe9be62
	v_add_f64 v[12:13], v[12:13], s[18:19]
	s_mov_b32 s18, 0x652b82fe
	s_mov_b32 s19, 0x3ff71547
	v_mul_f64 v[18:19], v[16:17], s[18:19]
	s_mov_b32 s18, 0xfefa39ef
	v_rndne_f64_e32 v[18:19], v[18:19]
	s_mov_b32 s19, 0xbfe62e42
	v_fma_f64 v[24:25], s[18:19], v[18:19], v[16:17]
	s_mov_b32 s18, 0x3b39803f
	s_mov_b32 s19, 0xbc7abc9e
	v_fmac_f64_e32 v[24:25], s[18:19], v[18:19]
	s_mov_b32 s18, 0x6a5dcb37
	s_mov_b32 s19, 0x3e5ade15
	v_fmac_f64_e32 v[26:27], s[18:19], v[24:25]
	v_mov_b32_e32 v29, 0x3ec71dee
	v_fmac_f64_e32 v[28:29], v[24:25], v[26:27]
	v_mov_b32_e32 v26, 0x7c89e6b0
	v_mov_b32_e32 v27, 0x3efa0199
	v_fmac_f64_e32 v[26:27], v[24:25], v[28:29]
	v_mov_b32_e32 v28, 0x14761f6e
	;; [unrolled: 3-line block ×7, first 2 shown]
	v_mov_b32_e32 v27, 0x3fe00000
	v_fmac_f64_e32 v[26:27], v[24:25], v[28:29]
	s_mov_b32 s18, 0
	v_fma_f64 v[26:27], v[24:25], v[26:27], 1.0
	s_mov_b32 s19, 0x40900000
	v_fma_f64 v[24:25], v[24:25], v[26:27], 1.0
	v_cvt_i32_f64_e32 v15, v[18:19]
	v_cmp_nlt_f64_e32 vcc, s[18:19], v[16:17]
	s_mov_b32 s18, 0
	v_ldexp_f64 v[18:19], v[24:25], v15
	v_mov_b32_e32 v15, 0x7ff00000
	s_brev_b32 s19, 8
	v_cndmask_b32_e32 v19, v15, v19, vcc
	v_cndmask_b32_e32 v18, 0, v18, vcc
	v_cmp_gt_f64_e32 vcc, s[18:19], v[16:17]
	v_cndmask_b32_e64 v15, 0, 1, vcc
	v_lshlrev_b32_e32 v15, 8, v15
	v_ldexp_f64 v[24:25], v[16:17], v15
	v_rsq_f64_e32 v[26:27], v[24:25]
	v_add_f64 v[12:13], v[12:13], -v[20:21]
	v_mul_f64 v[12:13], v[12:13], 0.5
	v_mul_f64 v[12:13], v[18:19], v[12:13]
	v_mul_f64 v[18:19], v[24:25], v[26:27]
	v_mul_f64 v[20:21], v[26:27], 0.5
	v_fma_f64 v[26:27], -v[20:21], v[18:19], 0.5
	v_fmac_f64_e32 v[18:19], v[18:19], v[26:27]
	v_fma_f64 v[28:29], -v[18:19], v[18:19], v[24:25]
	v_fmac_f64_e32 v[20:21], v[20:21], v[26:27]
	v_fmac_f64_e32 v[18:19], v[28:29], v[20:21]
	v_fma_f64 v[26:27], -v[18:19], v[18:19], v[24:25]
	v_mov_b32_e32 v15, 0xffffff80
	v_fmac_f64_e32 v[18:19], v[26:27], v[20:21]
	v_cndmask_b32_e32 v15, 0, v15, vcc
	v_ldexp_f64 v[18:19], v[18:19], v15
	v_mov_b32_e32 v15, 0x260
	v_cmp_class_f64_e32 vcc, v[24:25], v15
	v_cndmask_b32_e32 v19, v19, v25, vcc
	v_cndmask_b32_e32 v18, v18, v24, vcc
	v_div_scale_f64 v[20:21], s[18:19], v[18:19], v[18:19], v[12:13]
	v_rcp_f64_e32 v[24:25], v[20:21]
	v_fma_f64 v[26:27], -v[20:21], v[24:25], 1.0
	v_fmac_f64_e32 v[24:25], v[24:25], v[26:27]
	v_fma_f64 v[26:27], -v[20:21], v[24:25], 1.0
	v_fmac_f64_e32 v[24:25], v[24:25], v[26:27]
	v_div_scale_f64 v[26:27], vcc, v[12:13], v[18:19], v[12:13]
	v_mul_f64 v[28:29], v[26:27], v[24:25]
	v_fma_f64 v[20:21], -v[20:21], v[28:29], v[26:27]
	s_nop 1
	v_div_fmas_f64 v[20:21], v[20:21], v[24:25], v[28:29]
	v_div_fixup_f64 v[12:13], v[20:21], v[18:19], v[12:13]
.LBB0_63:
	s_or_b64 exec, exec, s[14:15]
	s_mov_b32 s14, 0xe6a7fd77
	v_fma_f64 v[16:17], v[16:17], v[16:17], -2.0
	v_mov_b32_e32 v18, 0xc384c2aa
	v_mov_b32_e32 v19, 0x3d27fb0a
	s_mov_b32 s15, 0x3ca3cee1
	v_fmac_f64_e32 v[18:19], s[14:15], v[16:17]
	v_mov_b32_e32 v20, 0xe6a7fd77
	v_mov_b32_e32 v21, 0xbca3cee1
	s_mov_b32 s14, 0x47512144
	v_fmac_f64_e32 v[20:21], v[16:17], v[18:19]
	s_mov_b32 s15, 0x3da6c25c
	v_add_f64 v[20:21], v[20:21], s[14:15]
	s_mov_b32 s14, 0x67e58a13
	v_fma_f64 v[18:19], v[16:17], v[20:21], -v[18:19]
	s_mov_b32 s15, 0x3e205c13
	v_add_f64 v[18:19], v[18:19], s[14:15]
	s_mov_b32 s14, 0xe7f95efc
	v_fma_f64 v[20:21], v[16:17], v[18:19], -v[20:21]
	;; [unrolled: 4-line block ×7, first 2 shown]
	s_mov_b32 s15, 0xbfe12166
	v_add_f64 v[16:17], v[16:17], s[14:15]
	s_mov_b32 s14, 0x55555555
	v_add_f64 v[16:17], v[16:17], -v[18:19]
	v_frexp_mant_f64_e32 v[18:19], v[2:3]
	s_mov_b32 s15, 0x3fe55555
	v_mov_b32_e32 v20, 0x3ff00000
	v_cmp_gt_f64_e32 vcc, s[14:15], v[18:19]
	v_cndmask_b32_e64 v21, v20, 2.0, vcc
	v_mov_b32_e32 v20, 0
	v_mul_f64 v[18:19], v[18:19], v[20:21]
	v_add_f64 v[20:21], v[18:19], 1.0
	v_rcp_f64_e32 v[24:25], v[20:21]
	v_add_f64 v[28:29], v[20:21], -1.0
	v_add_f64 v[26:27], v[18:19], -1.0
	v_add_f64 v[18:19], v[18:19], -v[28:29]
	v_fma_f64 v[28:29], -v[20:21], v[24:25], 1.0
	v_fmac_f64_e32 v[24:25], v[28:29], v[24:25]
	v_fma_f64 v[28:29], -v[20:21], v[24:25], 1.0
	v_fmac_f64_e32 v[24:25], v[28:29], v[24:25]
	v_mul_f64 v[28:29], v[26:27], v[24:25]
	v_mul_f64 v[30:31], v[20:21], v[28:29]
	v_fma_f64 v[20:21], v[28:29], v[20:21], -v[30:31]
	v_fmac_f64_e32 v[20:21], v[28:29], v[18:19]
	v_add_f64 v[18:19], v[30:31], v[20:21]
	v_add_f64 v[32:33], v[26:27], -v[18:19]
	v_add_f64 v[30:31], v[18:19], -v[30:31]
	v_add_f64 v[26:27], v[26:27], -v[32:33]
	v_add_f64 v[18:19], v[26:27], -v[18:19]
	v_add_f64 v[20:21], v[30:31], -v[20:21]
	v_add_f64 v[18:19], v[20:21], v[18:19]
	v_add_f64 v[18:19], v[32:33], v[18:19]
	v_mul_f64 v[18:19], v[24:25], v[18:19]
	v_add_f64 v[20:21], v[28:29], v[18:19]
	v_add_f64 v[24:25], v[20:21], -v[28:29]
	s_mov_b32 s14, 0xbf559e2b
	v_add_f64 v[18:19], v[18:19], -v[24:25]
	v_mul_f64 v[24:25], v[20:21], v[20:21]
	v_mov_b32_e32 v26, 0x6b47b09a
	v_mov_b32_e32 v27, 0x3fc38538
	s_mov_b32 s15, 0x3fc3ab76
	v_fmac_f64_e32 v[26:27], s[14:15], v[24:25]
	v_mov_b32_e32 v28, 0xd7f4df2e
	v_mov_b32_e32 v29, 0x3fc7474d
	v_fmac_f64_e32 v[28:29], v[24:25], v[26:27]
	v_mov_b32_e32 v26, 0x16291751
	v_mov_b32_e32 v27, 0x3fcc71c0
	;; [unrolled: 3-line block ×5, first 2 shown]
	v_fmac_f64_e32 v[28:29], v[24:25], v[26:27]
	v_ldexp_f64 v[26:27], v[20:21], 1
	v_mul_f64 v[20:21], v[20:21], v[24:25]
	v_mul_f64 v[20:21], v[20:21], v[28:29]
	v_add_f64 v[24:25], v[26:27], v[20:21]
	v_add_f64 v[26:27], v[24:25], -v[26:27]
	v_ldexp_f64 v[18:19], v[18:19], 1
	v_add_f64 v[20:21], v[20:21], -v[26:27]
	v_add_f64 v[18:19], v[18:19], v[20:21]
	v_frexp_exp_i32_f64_e32 v15, v[2:3]
	v_add_f64 v[20:21], v[24:25], v[18:19]
	v_subbrev_co_u32_e32 v15, vcc, 0, v15, vcc
	v_add_f64 v[24:25], v[20:21], -v[24:25]
	s_mov_b32 s14, 0xfefa39ef
	v_add_f64 v[18:19], v[18:19], -v[24:25]
	v_cvt_f64_i32_e32 v[24:25], v15
	s_mov_b32 s15, 0x3fe62e42
	v_mul_f64 v[26:27], v[24:25], s[14:15]
	v_fma_f64 v[28:29], v[24:25], s[14:15], -v[26:27]
	s_mov_b32 s14, 0x3b39803f
	s_mov_b32 s15, 0x3c7abc9e
	v_fmac_f64_e32 v[28:29], s[14:15], v[24:25]
	v_add_f64 v[24:25], v[26:27], v[28:29]
	v_add_f64 v[26:27], v[24:25], -v[26:27]
	v_add_f64 v[26:27], v[28:29], -v[26:27]
	v_add_f64 v[28:29], v[24:25], v[20:21]
	v_add_f64 v[30:31], v[28:29], -v[24:25]
	v_add_f64 v[32:33], v[28:29], -v[30:31]
	v_add_f64 v[24:25], v[24:25], -v[32:33]
	v_add_f64 v[20:21], v[20:21], -v[30:31]
	v_add_f64 v[20:21], v[20:21], v[24:25]
	v_add_f64 v[24:25], v[26:27], v[18:19]
	v_add_f64 v[30:31], v[24:25], -v[26:27]
	v_add_f64 v[32:33], v[24:25], -v[30:31]
	v_add_f64 v[20:21], v[24:25], v[20:21]
	v_add_f64 v[26:27], v[26:27], -v[32:33]
	v_add_f64 v[18:19], v[18:19], -v[30:31]
	v_add_f64 v[24:25], v[28:29], v[20:21]
	v_add_f64 v[18:19], v[18:19], v[26:27]
	v_add_f64 v[26:27], v[24:25], -v[28:29]
	v_add_f64 v[20:21], v[20:21], -v[26:27]
	s_mov_b32 s14, 0
	v_add_f64 v[18:19], v[18:19], v[20:21]
	s_mov_b32 s15, 0x7ff00000
	v_add_f64 v[18:19], v[24:25], v[18:19]
	v_cmp_eq_f64_e32 vcc, s[14:15], v[2:3]
	v_cndmask_b32_e32 v15, v18, v2, vcc
	v_cndmask_b32_e32 v18, v19, v3, vcc
	v_mov_b32_e32 v19, 0xfff00000
	v_cmp_neq_f64_e32 vcc, 0, v[2:3]
	v_cndmask_b32_e32 v3, v19, v18, vcc
	v_cndmask_b32_e32 v2, 0, v15, vcc
	v_mul_f64 v[2:3], v[2:3], v[12:13]
	v_fma_f64 v[12:13], v[16:17], 0.5, -v[2:3]
                                        ; implicit-def: $vgpr16_vgpr17
.LBB0_64:
	s_andn2_saveexec_b64 s[12:13], s[12:13]
	s_cbranch_execz .LBB0_66
; %bb.65:
	s_mov_b32 s14, 0
	s_mov_b32 s15, 0x40200000
	v_div_scale_f64 v[2:3], s[18:19], v[16:17], v[16:17], s[14:15]
	v_rcp_f64_e32 v[12:13], v[2:3]
	v_mov_b32_e32 v24, 0xfca7ab0c
	v_mov_b32_e32 v25, 0x3e928af3
	;; [unrolled: 1-line block ×3, first 2 shown]
	v_fma_f64 v[18:19], -v[2:3], v[12:13], 1.0
	v_fmac_f64_e32 v[12:13], v[12:13], v[18:19]
	v_fma_f64 v[18:19], -v[2:3], v[12:13], 1.0
	v_fmac_f64_e32 v[12:13], v[12:13], v[18:19]
	v_div_scale_f64 v[18:19], vcc, s[14:15], v[16:17], s[14:15]
	v_mul_f64 v[20:21], v[18:19], v[12:13]
	v_fma_f64 v[2:3], -v[2:3], v[20:21], v[18:19]
	v_mov_b32_e32 v18, 0xcf8c9ee1
	s_nop 0
	v_div_fmas_f64 v[2:3], v[2:3], v[12:13], v[20:21]
	v_div_fixup_f64 v[2:3], v[2:3], v[16:17], s[14:15]
	s_mov_b32 s14, 0xcf8c9ee1
	v_add_f64 v[2:3], v[2:3], -2.0
	v_mov_b32_e32 v12, 0x93812603
	v_mov_b32_e32 v13, 0xbc72fecc
	s_mov_b32 s15, 0x3c5871a5
	v_fmac_f64_e32 v[12:13], s[14:15], v[2:3]
	v_mov_b32_e32 v19, 0xbc5871a5
	s_mov_b32 s14, 0x41a8cdf4
	v_fmac_f64_e32 v[18:19], v[2:3], v[12:13]
	s_mov_b32 s15, 0x3c8e092e
	v_add_f64 v[18:19], v[18:19], s[14:15]
	s_mov_b32 s14, 0x74d77641
	v_fma_f64 v[12:13], v[2:3], v[18:19], -v[12:13]
	s_mov_b32 s15, 0xbca82f94
	v_add_f64 v[12:13], v[12:13], s[14:15]
	s_mov_b32 s14, 0x6b94785b
	v_fma_f64 v[18:19], v[2:3], v[12:13], -v[18:19]
	;; [unrolled: 4-line block ×22, first 2 shown]
	s_mov_b32 s15, 0x400385bd
	v_add_f64 v[2:3], v[2:3], s[14:15]
	s_mov_b32 s14, 0x652b82fe
	s_mov_b32 s15, 0xbff71547
	v_mul_f64 v[12:13], v[16:17], s[14:15]
	s_mov_b32 s14, 0xfefa39ef
	v_rndne_f64_e32 v[12:13], v[12:13]
	s_mov_b32 s15, 0xbfe62e42
	v_fma_f64 v[20:21], v[12:13], s[14:15], -v[16:17]
	s_mov_b32 s14, 0x3b39803f
	s_mov_b32 s15, 0xbc7abc9e
	v_fmac_f64_e32 v[20:21], s[14:15], v[12:13]
	s_mov_b32 s14, 0x6a5dcb37
	s_mov_b32 s15, 0x3e5ade15
	v_fmac_f64_e32 v[24:25], s[14:15], v[20:21]
	v_mov_b32_e32 v27, 0x3ec71dee
	v_fmac_f64_e32 v[26:27], v[20:21], v[24:25]
	v_mov_b32_e32 v24, 0x7c89e6b0
	v_mov_b32_e32 v25, 0x3efa0199
	v_fmac_f64_e32 v[24:25], v[20:21], v[26:27]
	v_mov_b32_e32 v26, 0x14761f6e
	;; [unrolled: 3-line block ×7, first 2 shown]
	v_mov_b32_e32 v25, 0x3fe00000
	v_fmac_f64_e32 v[24:25], v[20:21], v[26:27]
	s_mov_b32 s14, 0
	v_fma_f64 v[24:25], v[20:21], v[24:25], 1.0
	s_mov_b32 s15, 0x4090cc00
	v_fma_f64 v[20:21], v[20:21], v[24:25], 1.0
	v_cvt_i32_f64_e32 v12, v[12:13]
	v_cmp_nlt_f64_e32 vcc, s[14:15], v[16:17]
	s_mov_b32 s14, 0
	v_ldexp_f64 v[12:13], v[20:21], v12
	s_brev_b32 s15, 8
	v_cndmask_b32_e32 v13, 0, v13, vcc
	v_cndmask_b32_e32 v12, 0, v12, vcc
	v_cmp_gt_f64_e32 vcc, s[14:15], v[16:17]
	v_cndmask_b32_e64 v15, 0, 1, vcc
	v_lshlrev_b32_e32 v15, 8, v15
	v_ldexp_f64 v[16:17], v[16:17], v15
	v_rsq_f64_e32 v[20:21], v[16:17]
	v_add_f64 v[2:3], v[2:3], -v[18:19]
	v_mul_f64 v[2:3], v[2:3], 0.5
	v_mul_f64 v[2:3], v[12:13], v[2:3]
	v_mul_f64 v[12:13], v[16:17], v[20:21]
	v_mul_f64 v[18:19], v[20:21], 0.5
	v_fma_f64 v[20:21], -v[18:19], v[12:13], 0.5
	v_fmac_f64_e32 v[12:13], v[12:13], v[20:21]
	v_fma_f64 v[24:25], -v[12:13], v[12:13], v[16:17]
	v_fmac_f64_e32 v[18:19], v[18:19], v[20:21]
	v_fmac_f64_e32 v[12:13], v[24:25], v[18:19]
	v_fma_f64 v[20:21], -v[12:13], v[12:13], v[16:17]
	v_mov_b32_e32 v15, 0xffffff80
	v_fmac_f64_e32 v[12:13], v[20:21], v[18:19]
	v_cndmask_b32_e32 v15, 0, v15, vcc
	v_ldexp_f64 v[12:13], v[12:13], v15
	v_mov_b32_e32 v15, 0x260
	v_cmp_class_f64_e32 vcc, v[16:17], v15
	v_cndmask_b32_e32 v13, v13, v17, vcc
	v_cndmask_b32_e32 v12, v12, v16, vcc
	v_div_scale_f64 v[16:17], s[14:15], v[12:13], v[12:13], v[2:3]
	v_rcp_f64_e32 v[18:19], v[16:17]
	v_fma_f64 v[20:21], -v[16:17], v[18:19], 1.0
	v_fmac_f64_e32 v[18:19], v[18:19], v[20:21]
	v_fma_f64 v[20:21], -v[16:17], v[18:19], 1.0
	v_fmac_f64_e32 v[18:19], v[18:19], v[20:21]
	v_div_scale_f64 v[20:21], vcc, v[2:3], v[12:13], v[2:3]
	v_mul_f64 v[24:25], v[20:21], v[18:19]
	v_fma_f64 v[16:17], -v[16:17], v[24:25], v[20:21]
	s_nop 1
	v_div_fmas_f64 v[16:17], v[16:17], v[18:19], v[24:25]
	v_div_fixup_f64 v[12:13], v[16:17], v[12:13], v[2:3]
.LBB0_66:
	s_or_b64 exec, exec, s[12:13]
.LBB0_67:
	s_or_b64 exec, exec, s[10:11]
.LBB0_68:
	s_or_b64 exec, exec, s[8:9]
	s_or_b64 exec, exec, s[6:7]
	s_and_saveexec_b64 s[6:7], s[4:5]
	s_xor_b64 s[4:5], exec, s[6:7]
	s_cbranch_execz .LBB0_52
.LBB0_69:
	v_mov_b32_e32 v15, 0
	v_lshlrev_b64 v[2:3], 3, v[14:15]
	v_add_co_u32_e32 v2, vcc, v0, v2
	v_addc_co_u32_e32 v3, vcc, v1, v3, vcc
	v_mov_b32_e32 v5, v22
	flat_store_dwordx2 v[2:3], v[6:7]
	s_or_b64 exec, exec, s[4:5]
	v_cmp_lt_i32_e32 vcc, v5, v4
	s_and_saveexec_b64 s[4:5], vcc
	s_cbranch_execz .LBB0_53
.LBB0_70:
	v_add_u32_e32 v2, s16, v5
	v_mov_b32_e32 v3, 0
	v_lshlrev_b64 v[2:3], 3, v[2:3]
	v_add_co_u32_e32 v2, vcc, v0, v2
	v_addc_co_u32_e32 v3, vcc, v1, v3, vcc
	v_add_u32_e32 v5, 0x100, v5
	flat_store_dwordx2 v[2:3], v[8:9]
	s_or_b64 exec, exec, s[4:5]
	v_cmp_lt_i32_e32 vcc, v5, v4
	s_and_saveexec_b64 s[4:5], vcc
	s_cbranch_execz .LBB0_54
.LBB0_71:
	v_add_u32_e32 v2, s16, v5
	v_mov_b32_e32 v3, 0
	v_lshlrev_b64 v[2:3], 3, v[2:3]
	v_add_co_u32_e32 v2, vcc, v0, v2
	v_addc_co_u32_e32 v3, vcc, v1, v3, vcc
	v_add_u32_e32 v5, 0x100, v5
	flat_store_dwordx2 v[2:3], v[10:11]
	s_or_b64 exec, exec, s[4:5]
	v_cmp_lt_i32_e32 vcc, v5, v4
	s_and_saveexec_b64 s[4:5], vcc
	s_cbranch_execz .LBB0_55
.LBB0_72:
	v_add_u32_e32 v2, s16, v5
	v_mov_b32_e32 v3, 0
	v_lshlrev_b64 v[2:3], 3, v[2:3]
	v_add_co_u32_e32 v0, vcc, v0, v2
	v_addc_co_u32_e32 v1, vcc, v1, v3, vcc
	flat_store_dwordx2 v[0:1], v[12:13]
	s_or_b64 exec, exec, s[4:5]
	s_waitcnt vmcnt(0) lgkmcnt(0)
	s_setpc_b64 s[30:31]
.Lfunc_end0:
	.size	_ZN2at6native25elementwise_kernel_helperILb0EZZZNS0_12_GLOBAL__N_130modified_bessel_k0_kernel_cudaERNS_18TensorIteratorBaseEENKUlvE_clEvENKUlvE_clEvEUldE_NS0_6memory8policies11unroll_baseILi256ESt5arrayIPcLm2EE23TrivialOffsetCalculatorILi1EjESF_NS8_15LoadWithoutCastENS8_16StoreWithoutCastELi4ELi1EEEEEvT0_T1_, .Lfunc_end0-_ZN2at6native25elementwise_kernel_helperILb0EZZZNS0_12_GLOBAL__N_130modified_bessel_k0_kernel_cudaERNS_18TensorIteratorBaseEENKUlvE_clEvENKUlvE_clEvEUldE_NS0_6memory8policies11unroll_baseILi256ESt5arrayIPcLm2EE23TrivialOffsetCalculatorILi1EjESF_NS8_15LoadWithoutCastENS8_16StoreWithoutCastELi4ELi1EEEEEvT0_T1_
                                        ; -- End function
	.section	.AMDGPU.csdata,"",@progbits
; Function info:
; codeLenInByte = 22256
; NumSgprs: 36
; NumVgprs: 38
; NumAgprs: 0
; TotalNumVgprs: 38
; ScratchSize: 0
; MemoryBound: 0
	.text
	.p2align	2                               ; -- Begin function _ZN2at6native25elementwise_kernel_helperILb0EZZZNS0_12_GLOBAL__N_130modified_bessel_k0_kernel_cudaERNS_18TensorIteratorBaseEENKUlvE_clEvENKUlvE_clEvEUldE_NS0_6memory8policies10vectorizedILi4ESt5arrayIPcLm2EELi4EEEEEvT0_T1_
	.type	_ZN2at6native25elementwise_kernel_helperILb0EZZZNS0_12_GLOBAL__N_130modified_bessel_k0_kernel_cudaERNS_18TensorIteratorBaseEENKUlvE_clEvENKUlvE_clEvEUldE_NS0_6memory8policies10vectorizedILi4ESt5arrayIPcLm2EELi4EEEEEvT0_T1_,@function
_ZN2at6native25elementwise_kernel_helperILb0EZZZNS0_12_GLOBAL__N_130modified_bessel_k0_kernel_cudaERNS_18TensorIteratorBaseEENKUlvE_clEvENKUlvE_clEvEUldE_NS0_6memory8policies10vectorizedILi4ESt5arrayIPcLm2EELi4EEEEEvT0_T1_: ; @_ZN2at6native25elementwise_kernel_helperILb0EZZZNS0_12_GLOBAL__N_130modified_bessel_k0_kernel_cudaERNS_18TensorIteratorBaseEENKUlvE_clEvENKUlvE_clEvEUldE_NS0_6memory8policies10vectorizedILi4ESt5arrayIPcLm2EELi4EEEEEvT0_T1_
; %bb.0:
	s_waitcnt vmcnt(0) expcnt(0) lgkmcnt(0)
	s_lshl_b32 s4, s12, 10
	s_ashr_i32 s5, s4, 31
	s_lshl_b64 s[4:5], s[4:5], 3
	v_mov_b32_e32 v4, s5
	v_add_co_u32_e32 v2, vcc, s4, v2
	v_addc_co_u32_e32 v3, vcc, v3, v4, vcc
	v_and_b32_e32 v4, 0x3ff, v31
	v_lshlrev_b32_e32 v16, 5, v4
	v_add_co_u32_e32 v2, vcc, v2, v16
	v_addc_co_u32_e32 v3, vcc, 0, v3, vcc
	flat_load_dwordx4 v[10:13], v[2:3]
	flat_load_dwordx4 v[6:9], v[2:3] offset:16
	v_mov_b32_e32 v4, 0
	v_mov_b32_e32 v5, 0x7ff00000
	v_pk_mov_b32 v[2:3], v[4:5], v[4:5] op_sel:[0,1]
	s_waitcnt vmcnt(0) lgkmcnt(0)
	v_cmp_neq_f64_e32 vcc, 0, v[10:11]
	s_and_saveexec_b64 s[6:7], vcc
	s_cbranch_execz .LBB1_12
; %bb.1:
	v_mov_b32_e32 v2, 0
	v_cmp_ngt_f64_e32 vcc, 0, v[10:11]
	v_mov_b32_e32 v3, 0x7ff80000
	s_and_saveexec_b64 s[8:9], vcc
	s_cbranch_execz .LBB1_11
; %bb.2:
	v_cmp_ge_f64_e32 vcc, 2.0, v[10:11]
	s_and_saveexec_b64 s[10:11], vcc
	s_xor_b64 s[10:11], exec, s[10:11]
	s_cbranch_execz .LBB1_8
; %bb.3:
	s_mov_b32 s12, 0
	s_mov_b32 s13, 0x40200000
	v_mul_f64 v[2:3], v[10:11], 0.5
	v_cmp_ge_f64_e32 vcc, s[12:13], v[10:11]
                                        ; implicit-def: $vgpr14_vgpr15
	s_and_saveexec_b64 s[12:13], vcc
	s_xor_b64 s[12:13], exec, s[12:13]
	s_cbranch_execz .LBB1_5
; %bb.4:
	s_mov_b32 s14, 0x2134d0ef
	v_add_f64 v[14:15], v[2:3], -2.0
	v_mov_b32_e32 v18, 0x977da589
	v_mov_b32_e32 v19, 0x3c833362
	s_mov_b32 s15, 0xbc545cb7
	v_fmac_f64_e32 v[18:19], s[14:15], v[14:15]
	v_mov_b32_e32 v20, 0x2134d0ef
	v_mov_b32_e32 v21, 0x3c545cb7
	s_mov_b32 s14, 0x721ebbb4
	v_fmac_f64_e32 v[20:21], v[14:15], v[18:19]
	s_mov_b32 s15, 0xbcb184eb
	v_add_f64 v[20:21], v[20:21], s[14:15]
	s_mov_b32 s14, 0x93f65eba
	v_fma_f64 v[18:19], v[14:15], v[20:21], -v[18:19]
	s_mov_b32 s15, 0x3cdee6d8
	v_add_f64 v[18:19], v[18:19], s[14:15]
	s_mov_b32 s14, 0xc297fbeb
	v_fma_f64 v[20:21], v[14:15], v[18:19], -v[20:21]
	;; [unrolled: 4-line block ×27, first 2 shown]
	s_mov_b32 s15, 0x3fe5a84e
	v_add_f64 v[14:15], v[14:15], s[14:15]
	s_mov_b32 s14, 0x652b82fe
	s_mov_b32 s15, 0x3ff71547
	v_mul_f64 v[20:21], v[10:11], s[14:15]
	s_mov_b32 s14, 0xfefa39ef
	v_rndne_f64_e32 v[20:21], v[20:21]
	s_mov_b32 s15, 0xbfe62e42
	v_fma_f64 v[22:23], s[14:15], v[20:21], v[10:11]
	s_mov_b32 s14, 0x3b39803f
	s_mov_b32 s15, 0xbc7abc9e
	v_fmac_f64_e32 v[22:23], s[14:15], v[20:21]
	s_mov_b32 s14, 0x6a5dcb37
	v_mov_b32_e32 v24, 0xfca7ab0c
	v_mov_b32_e32 v25, 0x3e928af3
	s_mov_b32 s15, 0x3e5ade15
	v_fmac_f64_e32 v[24:25], s[14:15], v[22:23]
	v_mov_b32_e32 v26, 0x623fde64
	v_mov_b32_e32 v27, 0x3ec71dee
	v_fmac_f64_e32 v[26:27], v[22:23], v[24:25]
	v_mov_b32_e32 v24, 0x7c89e6b0
	v_mov_b32_e32 v25, 0x3efa0199
	;; [unrolled: 3-line block ×8, first 2 shown]
	v_fmac_f64_e32 v[24:25], v[22:23], v[26:27]
	v_fma_f64 v[24:25], v[22:23], v[24:25], 1.0
	s_mov_b32 s14, 0
	v_fma_f64 v[22:23], v[22:23], v[24:25], 1.0
	v_cvt_i32_f64_e32 v17, v[20:21]
	s_mov_b32 s15, 0x40900000
	v_ldexp_f64 v[20:21], v[22:23], v17
	v_mov_b32_e32 v17, 0x7ff00000
	v_cmp_nlt_f64_e32 vcc, s[14:15], v[10:11]
	v_add_f64 v[14:15], v[14:15], -v[18:19]
	v_cndmask_b32_e32 v21, v17, v21, vcc
	v_cndmask_b32_e32 v20, 0, v20, vcc
	v_mul_f64 v[14:15], v[14:15], 0.5
	v_mul_f64 v[14:15], v[20:21], v[14:15]
.LBB1_5:
	s_andn2_saveexec_b64 s[12:13], s[12:13]
	s_cbranch_execz .LBB1_7
; %bb.6:
	s_mov_b32 s14, 0
	s_mov_b32 s15, 0x40400000
	v_div_scale_f64 v[14:15], s[16:17], v[10:11], v[10:11], s[14:15]
	v_rcp_f64_e32 v[18:19], v[14:15]
	v_mov_b32_e32 v24, 0xfca7ab0c
	v_mov_b32_e32 v25, 0x3e928af3
	;; [unrolled: 1-line block ×3, first 2 shown]
	v_fma_f64 v[20:21], -v[14:15], v[18:19], 1.0
	v_fmac_f64_e32 v[18:19], v[18:19], v[20:21]
	v_fma_f64 v[20:21], -v[14:15], v[18:19], 1.0
	v_fmac_f64_e32 v[18:19], v[18:19], v[20:21]
	v_div_scale_f64 v[20:21], vcc, s[14:15], v[10:11], s[14:15]
	v_mul_f64 v[22:23], v[20:21], v[18:19]
	v_fma_f64 v[14:15], -v[14:15], v[22:23], v[20:21]
	v_mov_b32_e32 v20, 0x54ca8b19
	s_nop 0
	v_div_fmas_f64 v[14:15], v[14:15], v[18:19], v[22:23]
	v_div_fixup_f64 v[14:15], v[14:15], v[10:11], s[14:15]
	s_mov_b32 s14, 0x54ca8b19
	v_add_f64 v[14:15], v[14:15], -2.0
	v_mov_b32_e32 v18, 0x66119130
	v_mov_b32_e32 v19, 0xbc5646da
	s_mov_b32 s15, 0xbc60adb7
	v_fmac_f64_e32 v[18:19], s[14:15], v[14:15]
	v_mov_b32_e32 v21, 0x3c60adb7
	s_mov_b32 s14, 0x12d98421
	v_fmac_f64_e32 v[20:21], v[14:15], v[18:19]
	s_mov_b32 s15, 0x3c89be18
	v_add_f64 v[20:21], v[20:21], s[14:15]
	s_mov_b32 s14, 0x76041cd
	v_fma_f64 v[18:19], v[14:15], v[20:21], -v[18:19]
	s_mov_b32 s15, 0x3c83f3dd
	v_add_f64 v[18:19], v[18:19], s[14:15]
	s_mov_b32 s14, 0xabd21fe4
	v_fma_f64 v[20:21], v[14:15], v[18:19], -v[20:21]
	;; [unrolled: 4-line block ×22, first 2 shown]
	s_mov_b32 s15, 0x3fe9be62
	v_add_f64 v[14:15], v[14:15], s[14:15]
	s_mov_b32 s14, 0x652b82fe
	s_mov_b32 s15, 0x3ff71547
	v_mul_f64 v[18:19], v[10:11], s[14:15]
	s_mov_b32 s14, 0xfefa39ef
	v_rndne_f64_e32 v[18:19], v[18:19]
	s_mov_b32 s15, 0xbfe62e42
	v_fma_f64 v[22:23], s[14:15], v[18:19], v[10:11]
	s_mov_b32 s14, 0x3b39803f
	s_mov_b32 s15, 0xbc7abc9e
	v_fmac_f64_e32 v[22:23], s[14:15], v[18:19]
	s_mov_b32 s14, 0x6a5dcb37
	s_mov_b32 s15, 0x3e5ade15
	v_fmac_f64_e32 v[24:25], s[14:15], v[22:23]
	v_mov_b32_e32 v27, 0x3ec71dee
	v_fmac_f64_e32 v[26:27], v[22:23], v[24:25]
	v_mov_b32_e32 v24, 0x7c89e6b0
	v_mov_b32_e32 v25, 0x3efa0199
	v_fmac_f64_e32 v[24:25], v[22:23], v[26:27]
	v_mov_b32_e32 v26, 0x14761f6e
	;; [unrolled: 3-line block ×7, first 2 shown]
	v_mov_b32_e32 v25, 0x3fe00000
	v_fmac_f64_e32 v[24:25], v[22:23], v[26:27]
	s_mov_b32 s14, 0
	v_fma_f64 v[24:25], v[22:23], v[24:25], 1.0
	s_mov_b32 s15, 0x40900000
	v_fma_f64 v[22:23], v[22:23], v[24:25], 1.0
	v_cvt_i32_f64_e32 v17, v[18:19]
	v_cmp_nlt_f64_e32 vcc, s[14:15], v[10:11]
	s_mov_b32 s14, 0
	v_ldexp_f64 v[18:19], v[22:23], v17
	v_mov_b32_e32 v17, 0x7ff00000
	s_brev_b32 s15, 8
	v_cndmask_b32_e32 v19, v17, v19, vcc
	v_cndmask_b32_e32 v18, 0, v18, vcc
	v_cmp_gt_f64_e32 vcc, s[14:15], v[10:11]
	v_cndmask_b32_e64 v17, 0, 1, vcc
	v_lshlrev_b32_e32 v17, 8, v17
	v_ldexp_f64 v[22:23], v[10:11], v17
	v_rsq_f64_e32 v[24:25], v[22:23]
	v_add_f64 v[14:15], v[14:15], -v[20:21]
	v_mul_f64 v[14:15], v[14:15], 0.5
	v_mul_f64 v[14:15], v[18:19], v[14:15]
	v_mul_f64 v[18:19], v[22:23], v[24:25]
	v_mul_f64 v[20:21], v[24:25], 0.5
	v_fma_f64 v[24:25], -v[20:21], v[18:19], 0.5
	v_fmac_f64_e32 v[18:19], v[18:19], v[24:25]
	v_fma_f64 v[26:27], -v[18:19], v[18:19], v[22:23]
	v_fmac_f64_e32 v[20:21], v[20:21], v[24:25]
	v_fmac_f64_e32 v[18:19], v[26:27], v[20:21]
	v_fma_f64 v[24:25], -v[18:19], v[18:19], v[22:23]
	v_mov_b32_e32 v17, 0xffffff80
	v_fmac_f64_e32 v[18:19], v[24:25], v[20:21]
	v_cndmask_b32_e32 v17, 0, v17, vcc
	v_ldexp_f64 v[18:19], v[18:19], v17
	v_mov_b32_e32 v17, 0x260
	v_cmp_class_f64_e32 vcc, v[22:23], v17
	v_cndmask_b32_e32 v19, v19, v23, vcc
	v_cndmask_b32_e32 v18, v18, v22, vcc
	v_div_scale_f64 v[20:21], s[14:15], v[18:19], v[18:19], v[14:15]
	v_rcp_f64_e32 v[22:23], v[20:21]
	v_fma_f64 v[24:25], -v[20:21], v[22:23], 1.0
	v_fmac_f64_e32 v[22:23], v[22:23], v[24:25]
	v_fma_f64 v[24:25], -v[20:21], v[22:23], 1.0
	v_fmac_f64_e32 v[22:23], v[22:23], v[24:25]
	v_div_scale_f64 v[24:25], vcc, v[14:15], v[18:19], v[14:15]
	v_mul_f64 v[26:27], v[24:25], v[22:23]
	v_fma_f64 v[20:21], -v[20:21], v[26:27], v[24:25]
	s_nop 1
	v_div_fmas_f64 v[20:21], v[20:21], v[22:23], v[26:27]
	v_div_fixup_f64 v[14:15], v[20:21], v[18:19], v[14:15]
.LBB1_7:
	s_or_b64 exec, exec, s[12:13]
	s_mov_b32 s12, 0xe6a7fd77
	v_fma_f64 v[18:19], v[10:11], v[10:11], -2.0
	v_mov_b32_e32 v20, 0xc384c2aa
	v_mov_b32_e32 v21, 0x3d27fb0a
	s_mov_b32 s13, 0x3ca3cee1
	v_fmac_f64_e32 v[20:21], s[12:13], v[18:19]
	v_mov_b32_e32 v22, 0xe6a7fd77
	v_mov_b32_e32 v23, 0xbca3cee1
	s_mov_b32 s12, 0x47512144
	v_fmac_f64_e32 v[22:23], v[18:19], v[20:21]
	s_mov_b32 s13, 0x3da6c25c
	v_add_f64 v[22:23], v[22:23], s[12:13]
	s_mov_b32 s12, 0x67e58a13
	v_fma_f64 v[20:21], v[18:19], v[22:23], -v[20:21]
	s_mov_b32 s13, 0x3e205c13
	v_add_f64 v[20:21], v[20:21], s[12:13]
	s_mov_b32 s12, 0xe7f95efc
	v_fma_f64 v[22:23], v[18:19], v[20:21], -v[22:23]
	;; [unrolled: 4-line block ×7, first 2 shown]
	s_mov_b32 s13, 0xbfe12166
	v_add_f64 v[18:19], v[18:19], s[12:13]
	s_mov_b32 s12, 0x55555555
	v_add_f64 v[18:19], v[18:19], -v[20:21]
	v_frexp_mant_f64_e32 v[20:21], v[2:3]
	s_mov_b32 s13, 0x3fe55555
	v_mov_b32_e32 v22, 0x3ff00000
	v_cmp_gt_f64_e32 vcc, s[12:13], v[20:21]
	v_cndmask_b32_e64 v23, v22, 2.0, vcc
	v_mov_b32_e32 v22, 0
	v_mul_f64 v[20:21], v[20:21], v[22:23]
	v_add_f64 v[22:23], v[20:21], 1.0
	v_rcp_f64_e32 v[24:25], v[22:23]
	v_add_f64 v[28:29], v[22:23], -1.0
	v_add_f64 v[26:27], v[20:21], -1.0
	v_add_f64 v[20:21], v[20:21], -v[28:29]
	v_fma_f64 v[28:29], -v[22:23], v[24:25], 1.0
	v_fmac_f64_e32 v[24:25], v[28:29], v[24:25]
	v_fma_f64 v[28:29], -v[22:23], v[24:25], 1.0
	v_fmac_f64_e32 v[24:25], v[28:29], v[24:25]
	v_mul_f64 v[28:29], v[26:27], v[24:25]
	v_mul_f64 v[30:31], v[22:23], v[28:29]
	v_fma_f64 v[22:23], v[28:29], v[22:23], -v[30:31]
	v_fmac_f64_e32 v[22:23], v[28:29], v[20:21]
	v_add_f64 v[20:21], v[30:31], v[22:23]
	v_add_f64 v[32:33], v[26:27], -v[20:21]
	v_add_f64 v[30:31], v[20:21], -v[30:31]
	;; [unrolled: 1-line block ×5, first 2 shown]
	v_add_f64 v[20:21], v[22:23], v[20:21]
	v_add_f64 v[20:21], v[32:33], v[20:21]
	v_mul_f64 v[20:21], v[24:25], v[20:21]
	v_add_f64 v[22:23], v[28:29], v[20:21]
	v_add_f64 v[24:25], v[22:23], -v[28:29]
	s_mov_b32 s12, 0xbf559e2b
	v_add_f64 v[20:21], v[20:21], -v[24:25]
	v_mul_f64 v[24:25], v[22:23], v[22:23]
	v_mov_b32_e32 v26, 0x6b47b09a
	v_mov_b32_e32 v27, 0x3fc38538
	s_mov_b32 s13, 0x3fc3ab76
	v_fmac_f64_e32 v[26:27], s[12:13], v[24:25]
	v_mov_b32_e32 v28, 0xd7f4df2e
	v_mov_b32_e32 v29, 0x3fc7474d
	v_fmac_f64_e32 v[28:29], v[24:25], v[26:27]
	v_mov_b32_e32 v26, 0x16291751
	v_mov_b32_e32 v27, 0x3fcc71c0
	;; [unrolled: 3-line block ×5, first 2 shown]
	v_fmac_f64_e32 v[28:29], v[24:25], v[26:27]
	v_ldexp_f64 v[26:27], v[22:23], 1
	v_mul_f64 v[22:23], v[22:23], v[24:25]
	v_mul_f64 v[22:23], v[22:23], v[28:29]
	v_add_f64 v[24:25], v[26:27], v[22:23]
	v_add_f64 v[26:27], v[24:25], -v[26:27]
	v_ldexp_f64 v[20:21], v[20:21], 1
	v_add_f64 v[22:23], v[22:23], -v[26:27]
	v_add_f64 v[20:21], v[20:21], v[22:23]
	v_frexp_exp_i32_f64_e32 v17, v[2:3]
	v_add_f64 v[22:23], v[24:25], v[20:21]
	v_subbrev_co_u32_e32 v17, vcc, 0, v17, vcc
	v_add_f64 v[24:25], v[22:23], -v[24:25]
	s_mov_b32 s12, 0xfefa39ef
	v_add_f64 v[20:21], v[20:21], -v[24:25]
	v_cvt_f64_i32_e32 v[24:25], v17
	s_mov_b32 s13, 0x3fe62e42
	v_mul_f64 v[26:27], v[24:25], s[12:13]
	v_fma_f64 v[28:29], v[24:25], s[12:13], -v[26:27]
	s_mov_b32 s12, 0x3b39803f
	s_mov_b32 s13, 0x3c7abc9e
	v_fmac_f64_e32 v[28:29], s[12:13], v[24:25]
	v_add_f64 v[24:25], v[26:27], v[28:29]
	v_add_f64 v[26:27], v[24:25], -v[26:27]
	v_add_f64 v[26:27], v[28:29], -v[26:27]
	v_add_f64 v[28:29], v[24:25], v[22:23]
	v_add_f64 v[30:31], v[28:29], -v[24:25]
	v_add_f64 v[32:33], v[28:29], -v[30:31]
	;; [unrolled: 1-line block ×4, first 2 shown]
	v_add_f64 v[22:23], v[22:23], v[24:25]
	v_add_f64 v[24:25], v[26:27], v[20:21]
	v_add_f64 v[30:31], v[24:25], -v[26:27]
	v_add_f64 v[32:33], v[24:25], -v[30:31]
	v_add_f64 v[22:23], v[24:25], v[22:23]
	v_add_f64 v[26:27], v[26:27], -v[32:33]
	v_add_f64 v[20:21], v[20:21], -v[30:31]
	v_add_f64 v[24:25], v[28:29], v[22:23]
	v_add_f64 v[20:21], v[20:21], v[26:27]
	v_add_f64 v[26:27], v[24:25], -v[28:29]
	v_add_f64 v[22:23], v[22:23], -v[26:27]
	s_mov_b32 s12, 0
	v_add_f64 v[20:21], v[20:21], v[22:23]
	s_mov_b32 s13, 0x7ff00000
	v_add_f64 v[20:21], v[24:25], v[20:21]
	v_cmp_eq_f64_e32 vcc, s[12:13], v[2:3]
	v_cndmask_b32_e32 v17, v20, v2, vcc
	v_cndmask_b32_e32 v20, v21, v3, vcc
	v_mov_b32_e32 v21, 0xfff00000
	v_cmp_neq_f64_e32 vcc, 0, v[2:3]
	v_cndmask_b32_e32 v3, v21, v20, vcc
	v_cndmask_b32_e32 v2, 0, v17, vcc
	v_mul_f64 v[2:3], v[2:3], v[14:15]
	v_fma_f64 v[2:3], v[18:19], 0.5, -v[2:3]
.LBB1_8:
	s_andn2_saveexec_b64 s[10:11], s[10:11]
	s_cbranch_execz .LBB1_10
; %bb.9:
	s_mov_b32 s12, 0
	s_mov_b32 s13, 0x40200000
	v_div_scale_f64 v[2:3], s[14:15], v[10:11], v[10:11], s[12:13]
	v_rcp_f64_e32 v[14:15], v[2:3]
	v_mov_b32_e32 v22, 0xfca7ab0c
	v_mov_b32_e32 v23, 0x3e928af3
	;; [unrolled: 1-line block ×3, first 2 shown]
	v_fma_f64 v[18:19], -v[2:3], v[14:15], 1.0
	v_fmac_f64_e32 v[14:15], v[14:15], v[18:19]
	v_fma_f64 v[18:19], -v[2:3], v[14:15], 1.0
	v_fmac_f64_e32 v[14:15], v[14:15], v[18:19]
	v_div_scale_f64 v[18:19], vcc, s[12:13], v[10:11], s[12:13]
	v_mul_f64 v[20:21], v[18:19], v[14:15]
	v_fma_f64 v[2:3], -v[2:3], v[20:21], v[18:19]
	v_mov_b32_e32 v18, 0xcf8c9ee1
	s_nop 0
	v_div_fmas_f64 v[2:3], v[2:3], v[14:15], v[20:21]
	v_div_fixup_f64 v[2:3], v[2:3], v[10:11], s[12:13]
	s_mov_b32 s12, 0xcf8c9ee1
	v_add_f64 v[2:3], v[2:3], -2.0
	v_mov_b32_e32 v14, 0x93812603
	v_mov_b32_e32 v15, 0xbc72fecc
	s_mov_b32 s13, 0x3c5871a5
	v_fmac_f64_e32 v[14:15], s[12:13], v[2:3]
	v_mov_b32_e32 v19, 0xbc5871a5
	s_mov_b32 s12, 0x41a8cdf4
	v_fmac_f64_e32 v[18:19], v[2:3], v[14:15]
	s_mov_b32 s13, 0x3c8e092e
	v_add_f64 v[18:19], v[18:19], s[12:13]
	s_mov_b32 s12, 0x74d77641
	v_fma_f64 v[14:15], v[2:3], v[18:19], -v[14:15]
	s_mov_b32 s13, 0xbca82f94
	v_add_f64 v[14:15], v[14:15], s[12:13]
	s_mov_b32 s12, 0x6b94785b
	v_fma_f64 v[18:19], v[2:3], v[14:15], -v[18:19]
	;; [unrolled: 4-line block ×22, first 2 shown]
	s_mov_b32 s13, 0x400385bd
	v_add_f64 v[2:3], v[2:3], s[12:13]
	s_mov_b32 s12, 0x652b82fe
	s_mov_b32 s13, 0xbff71547
	v_mul_f64 v[14:15], v[10:11], s[12:13]
	s_mov_b32 s12, 0xfefa39ef
	v_rndne_f64_e32 v[14:15], v[14:15]
	s_mov_b32 s13, 0xbfe62e42
	v_fma_f64 v[20:21], v[14:15], s[12:13], -v[10:11]
	s_mov_b32 s12, 0x3b39803f
	s_mov_b32 s13, 0xbc7abc9e
	v_fmac_f64_e32 v[20:21], s[12:13], v[14:15]
	s_mov_b32 s12, 0x6a5dcb37
	s_mov_b32 s13, 0x3e5ade15
	v_fmac_f64_e32 v[22:23], s[12:13], v[20:21]
	v_mov_b32_e32 v25, 0x3ec71dee
	v_fmac_f64_e32 v[24:25], v[20:21], v[22:23]
	v_mov_b32_e32 v22, 0x7c89e6b0
	v_mov_b32_e32 v23, 0x3efa0199
	v_fmac_f64_e32 v[22:23], v[20:21], v[24:25]
	v_mov_b32_e32 v24, 0x14761f6e
	;; [unrolled: 3-line block ×7, first 2 shown]
	v_mov_b32_e32 v23, 0x3fe00000
	v_fmac_f64_e32 v[22:23], v[20:21], v[24:25]
	s_mov_b32 s12, 0
	v_fma_f64 v[22:23], v[20:21], v[22:23], 1.0
	s_mov_b32 s13, 0x4090cc00
	v_fma_f64 v[20:21], v[20:21], v[22:23], 1.0
	v_cvt_i32_f64_e32 v14, v[14:15]
	v_cmp_nlt_f64_e32 vcc, s[12:13], v[10:11]
	s_mov_b32 s12, 0
	v_ldexp_f64 v[14:15], v[20:21], v14
	s_brev_b32 s13, 8
	v_cndmask_b32_e32 v15, 0, v15, vcc
	v_cndmask_b32_e32 v14, 0, v14, vcc
	v_cmp_gt_f64_e32 vcc, s[12:13], v[10:11]
	v_cndmask_b32_e64 v17, 0, 1, vcc
	v_lshlrev_b32_e32 v17, 8, v17
	v_ldexp_f64 v[10:11], v[10:11], v17
	v_rsq_f64_e32 v[20:21], v[10:11]
	v_add_f64 v[2:3], v[2:3], -v[18:19]
	v_mul_f64 v[2:3], v[2:3], 0.5
	v_mul_f64 v[2:3], v[14:15], v[2:3]
	v_mul_f64 v[14:15], v[10:11], v[20:21]
	v_mul_f64 v[18:19], v[20:21], 0.5
	v_fma_f64 v[20:21], -v[18:19], v[14:15], 0.5
	v_fmac_f64_e32 v[14:15], v[14:15], v[20:21]
	v_fma_f64 v[22:23], -v[14:15], v[14:15], v[10:11]
	v_fmac_f64_e32 v[18:19], v[18:19], v[20:21]
	v_fmac_f64_e32 v[14:15], v[22:23], v[18:19]
	v_fma_f64 v[20:21], -v[14:15], v[14:15], v[10:11]
	v_mov_b32_e32 v17, 0xffffff80
	v_fmac_f64_e32 v[14:15], v[20:21], v[18:19]
	v_cndmask_b32_e32 v17, 0, v17, vcc
	v_ldexp_f64 v[14:15], v[14:15], v17
	v_mov_b32_e32 v17, 0x260
	v_cmp_class_f64_e32 vcc, v[10:11], v17
	v_cndmask_b32_e32 v11, v15, v11, vcc
	v_cndmask_b32_e32 v10, v14, v10, vcc
	v_div_scale_f64 v[14:15], s[12:13], v[10:11], v[10:11], v[2:3]
	v_rcp_f64_e32 v[18:19], v[14:15]
	v_fma_f64 v[20:21], -v[14:15], v[18:19], 1.0
	v_fmac_f64_e32 v[18:19], v[18:19], v[20:21]
	v_fma_f64 v[20:21], -v[14:15], v[18:19], 1.0
	v_fmac_f64_e32 v[18:19], v[18:19], v[20:21]
	v_div_scale_f64 v[20:21], vcc, v[2:3], v[10:11], v[2:3]
	v_mul_f64 v[22:23], v[20:21], v[18:19]
	v_fma_f64 v[14:15], -v[14:15], v[22:23], v[20:21]
	s_nop 1
	v_div_fmas_f64 v[14:15], v[14:15], v[18:19], v[22:23]
	v_div_fixup_f64 v[2:3], v[14:15], v[10:11], v[2:3]
.LBB1_10:
	s_or_b64 exec, exec, s[10:11]
.LBB1_11:
	s_or_b64 exec, exec, s[8:9]
.LBB1_12:
	s_or_b64 exec, exec, s[6:7]
	v_cmp_neq_f64_e32 vcc, 0, v[12:13]
	s_and_saveexec_b64 s[6:7], vcc
	s_cbranch_execz .LBB1_24
; %bb.13:
	v_mov_b32_e32 v4, 0
	v_cmp_ngt_f64_e32 vcc, 0, v[12:13]
	v_mov_b32_e32 v5, 0x7ff80000
	s_and_saveexec_b64 s[8:9], vcc
	s_cbranch_execz .LBB1_23
; %bb.14:
	v_cmp_ge_f64_e32 vcc, 2.0, v[12:13]
	s_and_saveexec_b64 s[10:11], vcc
	s_xor_b64 s[10:11], exec, s[10:11]
	s_cbranch_execz .LBB1_20
; %bb.15:
	s_mov_b32 s12, 0
	s_mov_b32 s13, 0x40200000
	v_mul_f64 v[4:5], v[12:13], 0.5
	v_cmp_ge_f64_e32 vcc, s[12:13], v[12:13]
                                        ; implicit-def: $vgpr10_vgpr11
	s_and_saveexec_b64 s[12:13], vcc
	s_xor_b64 s[12:13], exec, s[12:13]
	s_cbranch_execz .LBB1_17
; %bb.16:
	s_mov_b32 s14, 0x2134d0ef
	v_add_f64 v[10:11], v[4:5], -2.0
	v_mov_b32_e32 v14, 0x977da589
	v_mov_b32_e32 v15, 0x3c833362
	s_mov_b32 s15, 0xbc545cb7
	v_fmac_f64_e32 v[14:15], s[14:15], v[10:11]
	v_mov_b32_e32 v18, 0x2134d0ef
	v_mov_b32_e32 v19, 0x3c545cb7
	s_mov_b32 s14, 0x721ebbb4
	v_fmac_f64_e32 v[18:19], v[10:11], v[14:15]
	s_mov_b32 s15, 0xbcb184eb
	v_add_f64 v[18:19], v[18:19], s[14:15]
	s_mov_b32 s14, 0x93f65eba
	v_fma_f64 v[14:15], v[10:11], v[18:19], -v[14:15]
	s_mov_b32 s15, 0x3cdee6d8
	v_add_f64 v[14:15], v[14:15], s[14:15]
	s_mov_b32 s14, 0xc297fbeb
	v_fma_f64 v[18:19], v[10:11], v[14:15], -v[18:19]
	;; [unrolled: 4-line block ×27, first 2 shown]
	s_mov_b32 s15, 0x3fe5a84e
	v_add_f64 v[10:11], v[10:11], s[14:15]
	s_mov_b32 s14, 0x652b82fe
	s_mov_b32 s15, 0x3ff71547
	v_mul_f64 v[18:19], v[12:13], s[14:15]
	s_mov_b32 s14, 0xfefa39ef
	v_rndne_f64_e32 v[18:19], v[18:19]
	s_mov_b32 s15, 0xbfe62e42
	v_fma_f64 v[20:21], s[14:15], v[18:19], v[12:13]
	s_mov_b32 s14, 0x3b39803f
	s_mov_b32 s15, 0xbc7abc9e
	v_fmac_f64_e32 v[20:21], s[14:15], v[18:19]
	s_mov_b32 s14, 0x6a5dcb37
	v_mov_b32_e32 v22, 0xfca7ab0c
	v_mov_b32_e32 v23, 0x3e928af3
	s_mov_b32 s15, 0x3e5ade15
	v_fmac_f64_e32 v[22:23], s[14:15], v[20:21]
	v_mov_b32_e32 v24, 0x623fde64
	v_mov_b32_e32 v25, 0x3ec71dee
	v_fmac_f64_e32 v[24:25], v[20:21], v[22:23]
	v_mov_b32_e32 v22, 0x7c89e6b0
	v_mov_b32_e32 v23, 0x3efa0199
	;; [unrolled: 3-line block ×8, first 2 shown]
	v_fmac_f64_e32 v[22:23], v[20:21], v[24:25]
	v_fma_f64 v[22:23], v[20:21], v[22:23], 1.0
	s_mov_b32 s14, 0
	v_fma_f64 v[20:21], v[20:21], v[22:23], 1.0
	v_cvt_i32_f64_e32 v17, v[18:19]
	s_mov_b32 s15, 0x40900000
	v_ldexp_f64 v[18:19], v[20:21], v17
	v_mov_b32_e32 v17, 0x7ff00000
	v_cmp_nlt_f64_e32 vcc, s[14:15], v[12:13]
	v_add_f64 v[10:11], v[10:11], -v[14:15]
	v_cndmask_b32_e32 v19, v17, v19, vcc
	v_cndmask_b32_e32 v18, 0, v18, vcc
	v_mul_f64 v[10:11], v[10:11], 0.5
	v_mul_f64 v[10:11], v[18:19], v[10:11]
.LBB1_17:
	s_andn2_saveexec_b64 s[12:13], s[12:13]
	s_cbranch_execz .LBB1_19
; %bb.18:
	s_mov_b32 s14, 0
	s_mov_b32 s15, 0x40400000
	v_div_scale_f64 v[10:11], s[16:17], v[12:13], v[12:13], s[14:15]
	v_rcp_f64_e32 v[14:15], v[10:11]
	v_mov_b32_e32 v22, 0xfca7ab0c
	v_mov_b32_e32 v23, 0x3e928af3
	;; [unrolled: 1-line block ×3, first 2 shown]
	v_fma_f64 v[18:19], -v[10:11], v[14:15], 1.0
	v_fmac_f64_e32 v[14:15], v[14:15], v[18:19]
	v_fma_f64 v[18:19], -v[10:11], v[14:15], 1.0
	v_fmac_f64_e32 v[14:15], v[14:15], v[18:19]
	v_div_scale_f64 v[18:19], vcc, s[14:15], v[12:13], s[14:15]
	v_mul_f64 v[20:21], v[18:19], v[14:15]
	v_fma_f64 v[10:11], -v[10:11], v[20:21], v[18:19]
	v_mov_b32_e32 v18, 0x54ca8b19
	s_nop 0
	v_div_fmas_f64 v[10:11], v[10:11], v[14:15], v[20:21]
	v_div_fixup_f64 v[10:11], v[10:11], v[12:13], s[14:15]
	s_mov_b32 s14, 0x54ca8b19
	v_add_f64 v[10:11], v[10:11], -2.0
	v_mov_b32_e32 v14, 0x66119130
	v_mov_b32_e32 v15, 0xbc5646da
	s_mov_b32 s15, 0xbc60adb7
	v_fmac_f64_e32 v[14:15], s[14:15], v[10:11]
	v_mov_b32_e32 v19, 0x3c60adb7
	s_mov_b32 s14, 0x12d98421
	v_fmac_f64_e32 v[18:19], v[10:11], v[14:15]
	s_mov_b32 s15, 0x3c89be18
	v_add_f64 v[18:19], v[18:19], s[14:15]
	s_mov_b32 s14, 0x76041cd
	v_fma_f64 v[14:15], v[10:11], v[18:19], -v[14:15]
	s_mov_b32 s15, 0x3c83f3dd
	v_add_f64 v[14:15], v[14:15], s[14:15]
	s_mov_b32 s14, 0xabd21fe4
	v_fma_f64 v[18:19], v[10:11], v[14:15], -v[18:19]
	;; [unrolled: 4-line block ×22, first 2 shown]
	s_mov_b32 s15, 0x3fe9be62
	v_add_f64 v[10:11], v[10:11], s[14:15]
	s_mov_b32 s14, 0x652b82fe
	s_mov_b32 s15, 0x3ff71547
	v_mul_f64 v[14:15], v[12:13], s[14:15]
	s_mov_b32 s14, 0xfefa39ef
	v_rndne_f64_e32 v[14:15], v[14:15]
	s_mov_b32 s15, 0xbfe62e42
	v_fma_f64 v[20:21], s[14:15], v[14:15], v[12:13]
	s_mov_b32 s14, 0x3b39803f
	s_mov_b32 s15, 0xbc7abc9e
	v_fmac_f64_e32 v[20:21], s[14:15], v[14:15]
	s_mov_b32 s14, 0x6a5dcb37
	s_mov_b32 s15, 0x3e5ade15
	v_fmac_f64_e32 v[22:23], s[14:15], v[20:21]
	v_mov_b32_e32 v25, 0x3ec71dee
	v_fmac_f64_e32 v[24:25], v[20:21], v[22:23]
	v_mov_b32_e32 v22, 0x7c89e6b0
	v_mov_b32_e32 v23, 0x3efa0199
	v_fmac_f64_e32 v[22:23], v[20:21], v[24:25]
	v_mov_b32_e32 v24, 0x14761f6e
	;; [unrolled: 3-line block ×7, first 2 shown]
	v_mov_b32_e32 v23, 0x3fe00000
	v_fmac_f64_e32 v[22:23], v[20:21], v[24:25]
	s_mov_b32 s14, 0
	v_fma_f64 v[22:23], v[20:21], v[22:23], 1.0
	s_mov_b32 s15, 0x40900000
	v_fma_f64 v[20:21], v[20:21], v[22:23], 1.0
	v_cvt_i32_f64_e32 v14, v[14:15]
	v_cmp_nlt_f64_e32 vcc, s[14:15], v[12:13]
	s_mov_b32 s14, 0
	v_ldexp_f64 v[14:15], v[20:21], v14
	v_mov_b32_e32 v17, 0x7ff00000
	s_brev_b32 s15, 8
	v_cndmask_b32_e32 v15, v17, v15, vcc
	v_cndmask_b32_e32 v14, 0, v14, vcc
	v_cmp_gt_f64_e32 vcc, s[14:15], v[12:13]
	v_cndmask_b32_e64 v17, 0, 1, vcc
	v_lshlrev_b32_e32 v17, 8, v17
	v_ldexp_f64 v[20:21], v[12:13], v17
	v_rsq_f64_e32 v[22:23], v[20:21]
	v_add_f64 v[10:11], v[10:11], -v[18:19]
	v_mul_f64 v[10:11], v[10:11], 0.5
	v_mul_f64 v[10:11], v[14:15], v[10:11]
	v_mul_f64 v[14:15], v[20:21], v[22:23]
	v_mul_f64 v[18:19], v[22:23], 0.5
	v_fma_f64 v[22:23], -v[18:19], v[14:15], 0.5
	v_fmac_f64_e32 v[14:15], v[14:15], v[22:23]
	v_fma_f64 v[24:25], -v[14:15], v[14:15], v[20:21]
	v_fmac_f64_e32 v[18:19], v[18:19], v[22:23]
	v_fmac_f64_e32 v[14:15], v[24:25], v[18:19]
	v_fma_f64 v[22:23], -v[14:15], v[14:15], v[20:21]
	v_mov_b32_e32 v17, 0xffffff80
	v_fmac_f64_e32 v[14:15], v[22:23], v[18:19]
	v_cndmask_b32_e32 v17, 0, v17, vcc
	v_ldexp_f64 v[14:15], v[14:15], v17
	v_mov_b32_e32 v17, 0x260
	v_cmp_class_f64_e32 vcc, v[20:21], v17
	v_cndmask_b32_e32 v15, v15, v21, vcc
	v_cndmask_b32_e32 v14, v14, v20, vcc
	v_div_scale_f64 v[18:19], s[14:15], v[14:15], v[14:15], v[10:11]
	v_rcp_f64_e32 v[20:21], v[18:19]
	v_fma_f64 v[22:23], -v[18:19], v[20:21], 1.0
	v_fmac_f64_e32 v[20:21], v[20:21], v[22:23]
	v_fma_f64 v[22:23], -v[18:19], v[20:21], 1.0
	v_fmac_f64_e32 v[20:21], v[20:21], v[22:23]
	v_div_scale_f64 v[22:23], vcc, v[10:11], v[14:15], v[10:11]
	v_mul_f64 v[24:25], v[22:23], v[20:21]
	v_fma_f64 v[18:19], -v[18:19], v[24:25], v[22:23]
	s_nop 1
	v_div_fmas_f64 v[18:19], v[18:19], v[20:21], v[24:25]
	v_div_fixup_f64 v[10:11], v[18:19], v[14:15], v[10:11]
.LBB1_19:
	s_or_b64 exec, exec, s[12:13]
	s_mov_b32 s12, 0xe6a7fd77
	v_fma_f64 v[12:13], v[12:13], v[12:13], -2.0
	v_mov_b32_e32 v14, 0xc384c2aa
	v_mov_b32_e32 v15, 0x3d27fb0a
	s_mov_b32 s13, 0x3ca3cee1
	v_fmac_f64_e32 v[14:15], s[12:13], v[12:13]
	v_mov_b32_e32 v18, 0xe6a7fd77
	v_mov_b32_e32 v19, 0xbca3cee1
	s_mov_b32 s12, 0x47512144
	v_fmac_f64_e32 v[18:19], v[12:13], v[14:15]
	s_mov_b32 s13, 0x3da6c25c
	v_add_f64 v[18:19], v[18:19], s[12:13]
	s_mov_b32 s12, 0x67e58a13
	v_fma_f64 v[14:15], v[12:13], v[18:19], -v[14:15]
	s_mov_b32 s13, 0x3e205c13
	v_add_f64 v[14:15], v[14:15], s[12:13]
	s_mov_b32 s12, 0xe7f95efc
	v_fma_f64 v[18:19], v[12:13], v[14:15], -v[18:19]
	;; [unrolled: 4-line block ×7, first 2 shown]
	s_mov_b32 s13, 0xbfe12166
	v_add_f64 v[12:13], v[12:13], s[12:13]
	s_mov_b32 s12, 0x55555555
	v_add_f64 v[12:13], v[12:13], -v[14:15]
	v_frexp_mant_f64_e32 v[14:15], v[4:5]
	s_mov_b32 s13, 0x3fe55555
	v_mov_b32_e32 v18, 0x3ff00000
	v_cmp_gt_f64_e32 vcc, s[12:13], v[14:15]
	v_cndmask_b32_e64 v19, v18, 2.0, vcc
	v_mov_b32_e32 v18, 0
	v_mul_f64 v[14:15], v[14:15], v[18:19]
	v_add_f64 v[18:19], v[14:15], 1.0
	v_rcp_f64_e32 v[20:21], v[18:19]
	v_add_f64 v[24:25], v[18:19], -1.0
	v_add_f64 v[22:23], v[14:15], -1.0
	v_add_f64 v[14:15], v[14:15], -v[24:25]
	v_fma_f64 v[24:25], -v[18:19], v[20:21], 1.0
	v_fmac_f64_e32 v[20:21], v[24:25], v[20:21]
	v_fma_f64 v[24:25], -v[18:19], v[20:21], 1.0
	v_fmac_f64_e32 v[20:21], v[24:25], v[20:21]
	v_mul_f64 v[24:25], v[22:23], v[20:21]
	v_mul_f64 v[26:27], v[18:19], v[24:25]
	v_fma_f64 v[18:19], v[24:25], v[18:19], -v[26:27]
	v_fmac_f64_e32 v[18:19], v[24:25], v[14:15]
	v_add_f64 v[14:15], v[26:27], v[18:19]
	v_add_f64 v[28:29], v[22:23], -v[14:15]
	v_add_f64 v[26:27], v[14:15], -v[26:27]
	;; [unrolled: 1-line block ×5, first 2 shown]
	v_add_f64 v[14:15], v[18:19], v[14:15]
	v_add_f64 v[14:15], v[28:29], v[14:15]
	v_mul_f64 v[14:15], v[20:21], v[14:15]
	v_add_f64 v[18:19], v[24:25], v[14:15]
	v_add_f64 v[20:21], v[18:19], -v[24:25]
	s_mov_b32 s12, 0xbf559e2b
	v_add_f64 v[14:15], v[14:15], -v[20:21]
	v_mul_f64 v[20:21], v[18:19], v[18:19]
	v_mov_b32_e32 v22, 0x6b47b09a
	v_mov_b32_e32 v23, 0x3fc38538
	s_mov_b32 s13, 0x3fc3ab76
	v_fmac_f64_e32 v[22:23], s[12:13], v[20:21]
	v_mov_b32_e32 v24, 0xd7f4df2e
	v_mov_b32_e32 v25, 0x3fc7474d
	v_fmac_f64_e32 v[24:25], v[20:21], v[22:23]
	v_mov_b32_e32 v22, 0x16291751
	v_mov_b32_e32 v23, 0x3fcc71c0
	;; [unrolled: 3-line block ×5, first 2 shown]
	v_fmac_f64_e32 v[24:25], v[20:21], v[22:23]
	v_ldexp_f64 v[22:23], v[18:19], 1
	v_mul_f64 v[18:19], v[18:19], v[20:21]
	v_mul_f64 v[18:19], v[18:19], v[24:25]
	v_add_f64 v[20:21], v[22:23], v[18:19]
	v_add_f64 v[22:23], v[20:21], -v[22:23]
	v_ldexp_f64 v[14:15], v[14:15], 1
	v_add_f64 v[18:19], v[18:19], -v[22:23]
	v_add_f64 v[14:15], v[14:15], v[18:19]
	v_frexp_exp_i32_f64_e32 v17, v[4:5]
	v_add_f64 v[18:19], v[20:21], v[14:15]
	v_subbrev_co_u32_e32 v17, vcc, 0, v17, vcc
	v_add_f64 v[20:21], v[18:19], -v[20:21]
	s_mov_b32 s12, 0xfefa39ef
	v_add_f64 v[14:15], v[14:15], -v[20:21]
	v_cvt_f64_i32_e32 v[20:21], v17
	s_mov_b32 s13, 0x3fe62e42
	v_mul_f64 v[22:23], v[20:21], s[12:13]
	v_fma_f64 v[24:25], v[20:21], s[12:13], -v[22:23]
	s_mov_b32 s12, 0x3b39803f
	s_mov_b32 s13, 0x3c7abc9e
	v_fmac_f64_e32 v[24:25], s[12:13], v[20:21]
	v_add_f64 v[20:21], v[22:23], v[24:25]
	v_add_f64 v[22:23], v[20:21], -v[22:23]
	v_add_f64 v[22:23], v[24:25], -v[22:23]
	v_add_f64 v[24:25], v[20:21], v[18:19]
	v_add_f64 v[26:27], v[24:25], -v[20:21]
	v_add_f64 v[28:29], v[24:25], -v[26:27]
	;; [unrolled: 1-line block ×4, first 2 shown]
	v_add_f64 v[18:19], v[18:19], v[20:21]
	v_add_f64 v[20:21], v[22:23], v[14:15]
	v_add_f64 v[26:27], v[20:21], -v[22:23]
	v_add_f64 v[28:29], v[20:21], -v[26:27]
	v_add_f64 v[18:19], v[20:21], v[18:19]
	v_add_f64 v[22:23], v[22:23], -v[28:29]
	v_add_f64 v[14:15], v[14:15], -v[26:27]
	v_add_f64 v[20:21], v[24:25], v[18:19]
	v_add_f64 v[14:15], v[14:15], v[22:23]
	v_add_f64 v[22:23], v[20:21], -v[24:25]
	v_add_f64 v[18:19], v[18:19], -v[22:23]
	s_mov_b32 s12, 0
	v_add_f64 v[14:15], v[14:15], v[18:19]
	s_mov_b32 s13, 0x7ff00000
	v_add_f64 v[14:15], v[20:21], v[14:15]
	v_cmp_eq_f64_e32 vcc, s[12:13], v[4:5]
	v_cndmask_b32_e32 v14, v14, v4, vcc
	v_cndmask_b32_e32 v15, v15, v5, vcc
	v_mov_b32_e32 v17, 0xfff00000
	v_cmp_neq_f64_e32 vcc, 0, v[4:5]
	v_cndmask_b32_e32 v5, v17, v15, vcc
	v_cndmask_b32_e32 v4, 0, v14, vcc
	v_mul_f64 v[4:5], v[4:5], v[10:11]
	v_fma_f64 v[4:5], v[12:13], 0.5, -v[4:5]
                                        ; implicit-def: $vgpr12_vgpr13
.LBB1_20:
	s_andn2_saveexec_b64 s[10:11], s[10:11]
	s_cbranch_execz .LBB1_22
; %bb.21:
	s_mov_b32 s12, 0
	s_mov_b32 s13, 0x40200000
	v_div_scale_f64 v[4:5], s[14:15], v[12:13], v[12:13], s[12:13]
	v_rcp_f64_e32 v[10:11], v[4:5]
	v_mov_b32_e32 v20, 0xfca7ab0c
	v_mov_b32_e32 v21, 0x3e928af3
	v_mov_b32_e32 v22, 0x623fde64
	v_fma_f64 v[14:15], -v[4:5], v[10:11], 1.0
	v_fmac_f64_e32 v[10:11], v[10:11], v[14:15]
	v_fma_f64 v[14:15], -v[4:5], v[10:11], 1.0
	v_fmac_f64_e32 v[10:11], v[10:11], v[14:15]
	v_div_scale_f64 v[14:15], vcc, s[12:13], v[12:13], s[12:13]
	v_mul_f64 v[18:19], v[14:15], v[10:11]
	v_fma_f64 v[4:5], -v[4:5], v[18:19], v[14:15]
	v_mov_b32_e32 v14, 0xcf8c9ee1
	s_nop 0
	v_div_fmas_f64 v[4:5], v[4:5], v[10:11], v[18:19]
	v_div_fixup_f64 v[4:5], v[4:5], v[12:13], s[12:13]
	s_mov_b32 s12, 0xcf8c9ee1
	v_add_f64 v[4:5], v[4:5], -2.0
	v_mov_b32_e32 v10, 0x93812603
	v_mov_b32_e32 v11, 0xbc72fecc
	s_mov_b32 s13, 0x3c5871a5
	v_fmac_f64_e32 v[10:11], s[12:13], v[4:5]
	v_mov_b32_e32 v15, 0xbc5871a5
	s_mov_b32 s12, 0x41a8cdf4
	v_fmac_f64_e32 v[14:15], v[4:5], v[10:11]
	s_mov_b32 s13, 0x3c8e092e
	v_add_f64 v[14:15], v[14:15], s[12:13]
	s_mov_b32 s12, 0x74d77641
	v_fma_f64 v[10:11], v[4:5], v[14:15], -v[10:11]
	s_mov_b32 s13, 0xbca82f94
	v_add_f64 v[10:11], v[10:11], s[12:13]
	s_mov_b32 s12, 0x6b94785b
	v_fma_f64 v[14:15], v[4:5], v[10:11], -v[14:15]
	;; [unrolled: 4-line block ×22, first 2 shown]
	s_mov_b32 s13, 0x400385bd
	v_add_f64 v[4:5], v[4:5], s[12:13]
	s_mov_b32 s12, 0x652b82fe
	s_mov_b32 s13, 0xbff71547
	v_mul_f64 v[10:11], v[12:13], s[12:13]
	s_mov_b32 s12, 0xfefa39ef
	v_rndne_f64_e32 v[10:11], v[10:11]
	s_mov_b32 s13, 0xbfe62e42
	v_fma_f64 v[18:19], v[10:11], s[12:13], -v[12:13]
	s_mov_b32 s12, 0x3b39803f
	s_mov_b32 s13, 0xbc7abc9e
	v_fmac_f64_e32 v[18:19], s[12:13], v[10:11]
	s_mov_b32 s12, 0x6a5dcb37
	s_mov_b32 s13, 0x3e5ade15
	v_fmac_f64_e32 v[20:21], s[12:13], v[18:19]
	v_mov_b32_e32 v23, 0x3ec71dee
	v_fmac_f64_e32 v[22:23], v[18:19], v[20:21]
	v_mov_b32_e32 v20, 0x7c89e6b0
	v_mov_b32_e32 v21, 0x3efa0199
	v_fmac_f64_e32 v[20:21], v[18:19], v[22:23]
	v_mov_b32_e32 v22, 0x14761f6e
	;; [unrolled: 3-line block ×7, first 2 shown]
	v_mov_b32_e32 v21, 0x3fe00000
	v_fmac_f64_e32 v[20:21], v[18:19], v[22:23]
	s_mov_b32 s12, 0
	v_fma_f64 v[20:21], v[18:19], v[20:21], 1.0
	s_mov_b32 s13, 0x4090cc00
	v_fma_f64 v[18:19], v[18:19], v[20:21], 1.0
	v_cvt_i32_f64_e32 v10, v[10:11]
	v_cmp_nlt_f64_e32 vcc, s[12:13], v[12:13]
	s_mov_b32 s12, 0
	v_ldexp_f64 v[10:11], v[18:19], v10
	s_brev_b32 s13, 8
	v_cndmask_b32_e32 v11, 0, v11, vcc
	v_cndmask_b32_e32 v10, 0, v10, vcc
	v_cmp_gt_f64_e32 vcc, s[12:13], v[12:13]
	v_cndmask_b32_e64 v17, 0, 1, vcc
	v_lshlrev_b32_e32 v17, 8, v17
	v_ldexp_f64 v[12:13], v[12:13], v17
	v_rsq_f64_e32 v[18:19], v[12:13]
	v_add_f64 v[4:5], v[4:5], -v[14:15]
	v_mul_f64 v[4:5], v[4:5], 0.5
	v_mul_f64 v[4:5], v[10:11], v[4:5]
	v_mul_f64 v[10:11], v[12:13], v[18:19]
	v_mul_f64 v[14:15], v[18:19], 0.5
	v_fma_f64 v[18:19], -v[14:15], v[10:11], 0.5
	v_fmac_f64_e32 v[10:11], v[10:11], v[18:19]
	v_fma_f64 v[20:21], -v[10:11], v[10:11], v[12:13]
	v_fmac_f64_e32 v[14:15], v[14:15], v[18:19]
	v_fmac_f64_e32 v[10:11], v[20:21], v[14:15]
	v_fma_f64 v[18:19], -v[10:11], v[10:11], v[12:13]
	v_fmac_f64_e32 v[10:11], v[18:19], v[14:15]
	v_mov_b32_e32 v14, 0xffffff80
	v_cndmask_b32_e32 v14, 0, v14, vcc
	v_ldexp_f64 v[10:11], v[10:11], v14
	v_mov_b32_e32 v14, 0x260
	v_cmp_class_f64_e32 vcc, v[12:13], v14
	v_cndmask_b32_e32 v11, v11, v13, vcc
	v_cndmask_b32_e32 v10, v10, v12, vcc
	v_div_scale_f64 v[12:13], s[12:13], v[10:11], v[10:11], v[4:5]
	v_rcp_f64_e32 v[14:15], v[12:13]
	v_fma_f64 v[18:19], -v[12:13], v[14:15], 1.0
	v_fmac_f64_e32 v[14:15], v[14:15], v[18:19]
	v_fma_f64 v[18:19], -v[12:13], v[14:15], 1.0
	v_fmac_f64_e32 v[14:15], v[14:15], v[18:19]
	v_div_scale_f64 v[18:19], vcc, v[4:5], v[10:11], v[4:5]
	v_mul_f64 v[20:21], v[18:19], v[14:15]
	v_fma_f64 v[12:13], -v[12:13], v[20:21], v[18:19]
	s_nop 1
	v_div_fmas_f64 v[12:13], v[12:13], v[14:15], v[20:21]
	v_div_fixup_f64 v[4:5], v[12:13], v[10:11], v[4:5]
.LBB1_22:
	s_or_b64 exec, exec, s[10:11]
.LBB1_23:
	s_or_b64 exec, exec, s[8:9]
.LBB1_24:
	s_or_b64 exec, exec, s[6:7]
	v_mov_b32_e32 v12, 0
	v_mov_b32_e32 v13, 0x7ff00000
	v_cmp_neq_f64_e32 vcc, 0, v[6:7]
	v_pk_mov_b32 v[10:11], v[12:13], v[12:13] op_sel:[0,1]
	s_and_saveexec_b64 s[6:7], vcc
	s_cbranch_execz .LBB1_36
; %bb.25:
	v_mov_b32_e32 v10, 0
	v_cmp_ngt_f64_e32 vcc, 0, v[6:7]
	v_mov_b32_e32 v11, 0x7ff80000
	s_and_saveexec_b64 s[8:9], vcc
	s_cbranch_execz .LBB1_35
; %bb.26:
	v_cmp_ge_f64_e32 vcc, 2.0, v[6:7]
	s_and_saveexec_b64 s[10:11], vcc
	s_xor_b64 s[10:11], exec, s[10:11]
	s_cbranch_execz .LBB1_32
; %bb.27:
	s_mov_b32 s12, 0
	s_mov_b32 s13, 0x40200000
	v_mul_f64 v[10:11], v[6:7], 0.5
	v_cmp_ge_f64_e32 vcc, s[12:13], v[6:7]
                                        ; implicit-def: $vgpr14_vgpr15
	s_and_saveexec_b64 s[12:13], vcc
	s_xor_b64 s[12:13], exec, s[12:13]
	s_cbranch_execz .LBB1_29
; %bb.28:
	s_mov_b32 s14, 0x2134d0ef
	v_add_f64 v[14:15], v[10:11], -2.0
	v_mov_b32_e32 v18, 0x977da589
	v_mov_b32_e32 v19, 0x3c833362
	s_mov_b32 s15, 0xbc545cb7
	v_fmac_f64_e32 v[18:19], s[14:15], v[14:15]
	v_mov_b32_e32 v20, 0x2134d0ef
	v_mov_b32_e32 v21, 0x3c545cb7
	s_mov_b32 s14, 0x721ebbb4
	v_fmac_f64_e32 v[20:21], v[14:15], v[18:19]
	s_mov_b32 s15, 0xbcb184eb
	v_add_f64 v[20:21], v[20:21], s[14:15]
	s_mov_b32 s14, 0x93f65eba
	v_fma_f64 v[18:19], v[14:15], v[20:21], -v[18:19]
	s_mov_b32 s15, 0x3cdee6d8
	v_add_f64 v[18:19], v[18:19], s[14:15]
	s_mov_b32 s14, 0xc297fbeb
	v_fma_f64 v[20:21], v[14:15], v[18:19], -v[20:21]
	;; [unrolled: 4-line block ×27, first 2 shown]
	s_mov_b32 s15, 0x3fe5a84e
	v_add_f64 v[14:15], v[14:15], s[14:15]
	s_mov_b32 s14, 0x652b82fe
	s_mov_b32 s15, 0x3ff71547
	v_mul_f64 v[20:21], v[6:7], s[14:15]
	s_mov_b32 s14, 0xfefa39ef
	v_rndne_f64_e32 v[20:21], v[20:21]
	s_mov_b32 s15, 0xbfe62e42
	v_fma_f64 v[22:23], s[14:15], v[20:21], v[6:7]
	s_mov_b32 s14, 0x3b39803f
	s_mov_b32 s15, 0xbc7abc9e
	v_fmac_f64_e32 v[22:23], s[14:15], v[20:21]
	s_mov_b32 s14, 0x6a5dcb37
	v_mov_b32_e32 v24, 0xfca7ab0c
	v_mov_b32_e32 v25, 0x3e928af3
	s_mov_b32 s15, 0x3e5ade15
	v_fmac_f64_e32 v[24:25], s[14:15], v[22:23]
	v_mov_b32_e32 v26, 0x623fde64
	v_mov_b32_e32 v27, 0x3ec71dee
	v_fmac_f64_e32 v[26:27], v[22:23], v[24:25]
	v_mov_b32_e32 v24, 0x7c89e6b0
	v_mov_b32_e32 v25, 0x3efa0199
	;; [unrolled: 3-line block ×8, first 2 shown]
	v_fmac_f64_e32 v[24:25], v[22:23], v[26:27]
	v_fma_f64 v[24:25], v[22:23], v[24:25], 1.0
	s_mov_b32 s14, 0
	v_fma_f64 v[22:23], v[22:23], v[24:25], 1.0
	v_cvt_i32_f64_e32 v17, v[20:21]
	s_mov_b32 s15, 0x40900000
	v_ldexp_f64 v[20:21], v[22:23], v17
	v_mov_b32_e32 v17, 0x7ff00000
	v_cmp_nlt_f64_e32 vcc, s[14:15], v[6:7]
	v_add_f64 v[14:15], v[14:15], -v[18:19]
	v_cndmask_b32_e32 v21, v17, v21, vcc
	v_cndmask_b32_e32 v20, 0, v20, vcc
	v_mul_f64 v[14:15], v[14:15], 0.5
	v_mul_f64 v[14:15], v[20:21], v[14:15]
.LBB1_29:
	s_andn2_saveexec_b64 s[12:13], s[12:13]
	s_cbranch_execz .LBB1_31
; %bb.30:
	s_mov_b32 s14, 0
	s_mov_b32 s15, 0x40400000
	v_div_scale_f64 v[14:15], s[16:17], v[6:7], v[6:7], s[14:15]
	v_rcp_f64_e32 v[18:19], v[14:15]
	v_mov_b32_e32 v24, 0xfca7ab0c
	v_mov_b32_e32 v25, 0x3e928af3
	;; [unrolled: 1-line block ×3, first 2 shown]
	v_fma_f64 v[20:21], -v[14:15], v[18:19], 1.0
	v_fmac_f64_e32 v[18:19], v[18:19], v[20:21]
	v_fma_f64 v[20:21], -v[14:15], v[18:19], 1.0
	v_fmac_f64_e32 v[18:19], v[18:19], v[20:21]
	v_div_scale_f64 v[20:21], vcc, s[14:15], v[6:7], s[14:15]
	v_mul_f64 v[22:23], v[20:21], v[18:19]
	v_fma_f64 v[14:15], -v[14:15], v[22:23], v[20:21]
	v_mov_b32_e32 v20, 0x54ca8b19
	s_nop 0
	v_div_fmas_f64 v[14:15], v[14:15], v[18:19], v[22:23]
	v_div_fixup_f64 v[14:15], v[14:15], v[6:7], s[14:15]
	s_mov_b32 s14, 0x54ca8b19
	v_add_f64 v[14:15], v[14:15], -2.0
	v_mov_b32_e32 v18, 0x66119130
	v_mov_b32_e32 v19, 0xbc5646da
	s_mov_b32 s15, 0xbc60adb7
	v_fmac_f64_e32 v[18:19], s[14:15], v[14:15]
	v_mov_b32_e32 v21, 0x3c60adb7
	s_mov_b32 s14, 0x12d98421
	v_fmac_f64_e32 v[20:21], v[14:15], v[18:19]
	s_mov_b32 s15, 0x3c89be18
	v_add_f64 v[20:21], v[20:21], s[14:15]
	s_mov_b32 s14, 0x76041cd
	v_fma_f64 v[18:19], v[14:15], v[20:21], -v[18:19]
	s_mov_b32 s15, 0x3c83f3dd
	v_add_f64 v[18:19], v[18:19], s[14:15]
	s_mov_b32 s14, 0xabd21fe4
	v_fma_f64 v[20:21], v[14:15], v[18:19], -v[20:21]
	;; [unrolled: 4-line block ×22, first 2 shown]
	s_mov_b32 s15, 0x3fe9be62
	v_add_f64 v[14:15], v[14:15], s[14:15]
	s_mov_b32 s14, 0x652b82fe
	s_mov_b32 s15, 0x3ff71547
	v_mul_f64 v[18:19], v[6:7], s[14:15]
	s_mov_b32 s14, 0xfefa39ef
	v_rndne_f64_e32 v[18:19], v[18:19]
	s_mov_b32 s15, 0xbfe62e42
	v_fma_f64 v[22:23], s[14:15], v[18:19], v[6:7]
	s_mov_b32 s14, 0x3b39803f
	s_mov_b32 s15, 0xbc7abc9e
	v_fmac_f64_e32 v[22:23], s[14:15], v[18:19]
	s_mov_b32 s14, 0x6a5dcb37
	s_mov_b32 s15, 0x3e5ade15
	v_fmac_f64_e32 v[24:25], s[14:15], v[22:23]
	v_mov_b32_e32 v27, 0x3ec71dee
	v_fmac_f64_e32 v[26:27], v[22:23], v[24:25]
	v_mov_b32_e32 v24, 0x7c89e6b0
	v_mov_b32_e32 v25, 0x3efa0199
	v_fmac_f64_e32 v[24:25], v[22:23], v[26:27]
	v_mov_b32_e32 v26, 0x14761f6e
	;; [unrolled: 3-line block ×7, first 2 shown]
	v_mov_b32_e32 v25, 0x3fe00000
	v_fmac_f64_e32 v[24:25], v[22:23], v[26:27]
	s_mov_b32 s14, 0
	v_fma_f64 v[24:25], v[22:23], v[24:25], 1.0
	s_mov_b32 s15, 0x40900000
	v_fma_f64 v[22:23], v[22:23], v[24:25], 1.0
	v_cvt_i32_f64_e32 v17, v[18:19]
	v_cmp_nlt_f64_e32 vcc, s[14:15], v[6:7]
	s_mov_b32 s14, 0
	v_ldexp_f64 v[18:19], v[22:23], v17
	v_mov_b32_e32 v17, 0x7ff00000
	s_brev_b32 s15, 8
	v_cndmask_b32_e32 v19, v17, v19, vcc
	v_cndmask_b32_e32 v18, 0, v18, vcc
	v_cmp_gt_f64_e32 vcc, s[14:15], v[6:7]
	v_cndmask_b32_e64 v17, 0, 1, vcc
	v_lshlrev_b32_e32 v17, 8, v17
	v_ldexp_f64 v[22:23], v[6:7], v17
	v_rsq_f64_e32 v[24:25], v[22:23]
	v_add_f64 v[14:15], v[14:15], -v[20:21]
	v_mul_f64 v[14:15], v[14:15], 0.5
	v_mul_f64 v[14:15], v[18:19], v[14:15]
	v_mul_f64 v[18:19], v[22:23], v[24:25]
	v_mul_f64 v[20:21], v[24:25], 0.5
	v_fma_f64 v[24:25], -v[20:21], v[18:19], 0.5
	v_fmac_f64_e32 v[18:19], v[18:19], v[24:25]
	v_fma_f64 v[26:27], -v[18:19], v[18:19], v[22:23]
	v_fmac_f64_e32 v[20:21], v[20:21], v[24:25]
	v_fmac_f64_e32 v[18:19], v[26:27], v[20:21]
	v_fma_f64 v[24:25], -v[18:19], v[18:19], v[22:23]
	v_mov_b32_e32 v17, 0xffffff80
	v_fmac_f64_e32 v[18:19], v[24:25], v[20:21]
	v_cndmask_b32_e32 v17, 0, v17, vcc
	v_ldexp_f64 v[18:19], v[18:19], v17
	v_mov_b32_e32 v17, 0x260
	v_cmp_class_f64_e32 vcc, v[22:23], v17
	v_cndmask_b32_e32 v19, v19, v23, vcc
	v_cndmask_b32_e32 v18, v18, v22, vcc
	v_div_scale_f64 v[20:21], s[14:15], v[18:19], v[18:19], v[14:15]
	v_rcp_f64_e32 v[22:23], v[20:21]
	v_fma_f64 v[24:25], -v[20:21], v[22:23], 1.0
	v_fmac_f64_e32 v[22:23], v[22:23], v[24:25]
	v_fma_f64 v[24:25], -v[20:21], v[22:23], 1.0
	v_fmac_f64_e32 v[22:23], v[22:23], v[24:25]
	v_div_scale_f64 v[24:25], vcc, v[14:15], v[18:19], v[14:15]
	v_mul_f64 v[26:27], v[24:25], v[22:23]
	v_fma_f64 v[20:21], -v[20:21], v[26:27], v[24:25]
	s_nop 1
	v_div_fmas_f64 v[20:21], v[20:21], v[22:23], v[26:27]
	v_div_fixup_f64 v[14:15], v[20:21], v[18:19], v[14:15]
.LBB1_31:
	s_or_b64 exec, exec, s[12:13]
	s_mov_b32 s12, 0xe6a7fd77
	v_fma_f64 v[18:19], v[6:7], v[6:7], -2.0
	v_mov_b32_e32 v20, 0xc384c2aa
	v_mov_b32_e32 v21, 0x3d27fb0a
	s_mov_b32 s13, 0x3ca3cee1
	v_fmac_f64_e32 v[20:21], s[12:13], v[18:19]
	v_mov_b32_e32 v22, 0xe6a7fd77
	v_mov_b32_e32 v23, 0xbca3cee1
	s_mov_b32 s12, 0x47512144
	v_fmac_f64_e32 v[22:23], v[18:19], v[20:21]
	s_mov_b32 s13, 0x3da6c25c
	v_add_f64 v[22:23], v[22:23], s[12:13]
	s_mov_b32 s12, 0x67e58a13
	v_fma_f64 v[20:21], v[18:19], v[22:23], -v[20:21]
	s_mov_b32 s13, 0x3e205c13
	v_add_f64 v[20:21], v[20:21], s[12:13]
	s_mov_b32 s12, 0xe7f95efc
	v_fma_f64 v[22:23], v[18:19], v[20:21], -v[22:23]
	;; [unrolled: 4-line block ×7, first 2 shown]
	s_mov_b32 s13, 0xbfe12166
	v_add_f64 v[18:19], v[18:19], s[12:13]
	s_mov_b32 s12, 0x55555555
	v_add_f64 v[18:19], v[18:19], -v[20:21]
	v_frexp_mant_f64_e32 v[20:21], v[10:11]
	s_mov_b32 s13, 0x3fe55555
	v_mov_b32_e32 v22, 0x3ff00000
	v_cmp_gt_f64_e32 vcc, s[12:13], v[20:21]
	v_cndmask_b32_e64 v23, v22, 2.0, vcc
	v_mov_b32_e32 v22, 0
	v_mul_f64 v[20:21], v[20:21], v[22:23]
	v_add_f64 v[22:23], v[20:21], 1.0
	v_rcp_f64_e32 v[24:25], v[22:23]
	v_add_f64 v[28:29], v[22:23], -1.0
	v_add_f64 v[26:27], v[20:21], -1.0
	v_add_f64 v[20:21], v[20:21], -v[28:29]
	v_fma_f64 v[28:29], -v[22:23], v[24:25], 1.0
	v_fmac_f64_e32 v[24:25], v[28:29], v[24:25]
	v_fma_f64 v[28:29], -v[22:23], v[24:25], 1.0
	v_fmac_f64_e32 v[24:25], v[28:29], v[24:25]
	v_mul_f64 v[28:29], v[26:27], v[24:25]
	v_mul_f64 v[30:31], v[22:23], v[28:29]
	v_fma_f64 v[22:23], v[28:29], v[22:23], -v[30:31]
	v_fmac_f64_e32 v[22:23], v[28:29], v[20:21]
	v_add_f64 v[20:21], v[30:31], v[22:23]
	v_add_f64 v[32:33], v[26:27], -v[20:21]
	v_add_f64 v[30:31], v[20:21], -v[30:31]
	;; [unrolled: 1-line block ×5, first 2 shown]
	v_add_f64 v[20:21], v[22:23], v[20:21]
	v_add_f64 v[20:21], v[32:33], v[20:21]
	v_mul_f64 v[20:21], v[24:25], v[20:21]
	v_add_f64 v[22:23], v[28:29], v[20:21]
	v_add_f64 v[24:25], v[22:23], -v[28:29]
	s_mov_b32 s12, 0xbf559e2b
	v_add_f64 v[20:21], v[20:21], -v[24:25]
	v_mul_f64 v[24:25], v[22:23], v[22:23]
	v_mov_b32_e32 v26, 0x6b47b09a
	v_mov_b32_e32 v27, 0x3fc38538
	s_mov_b32 s13, 0x3fc3ab76
	v_fmac_f64_e32 v[26:27], s[12:13], v[24:25]
	v_mov_b32_e32 v28, 0xd7f4df2e
	v_mov_b32_e32 v29, 0x3fc7474d
	v_fmac_f64_e32 v[28:29], v[24:25], v[26:27]
	v_mov_b32_e32 v26, 0x16291751
	v_mov_b32_e32 v27, 0x3fcc71c0
	;; [unrolled: 3-line block ×5, first 2 shown]
	v_fmac_f64_e32 v[28:29], v[24:25], v[26:27]
	v_ldexp_f64 v[26:27], v[22:23], 1
	v_mul_f64 v[22:23], v[22:23], v[24:25]
	v_mul_f64 v[22:23], v[22:23], v[28:29]
	v_add_f64 v[24:25], v[26:27], v[22:23]
	v_add_f64 v[26:27], v[24:25], -v[26:27]
	v_ldexp_f64 v[20:21], v[20:21], 1
	v_add_f64 v[22:23], v[22:23], -v[26:27]
	v_add_f64 v[20:21], v[20:21], v[22:23]
	v_frexp_exp_i32_f64_e32 v17, v[10:11]
	v_add_f64 v[22:23], v[24:25], v[20:21]
	v_subbrev_co_u32_e32 v17, vcc, 0, v17, vcc
	v_add_f64 v[24:25], v[22:23], -v[24:25]
	s_mov_b32 s12, 0xfefa39ef
	v_add_f64 v[20:21], v[20:21], -v[24:25]
	v_cvt_f64_i32_e32 v[24:25], v17
	s_mov_b32 s13, 0x3fe62e42
	v_mul_f64 v[26:27], v[24:25], s[12:13]
	v_fma_f64 v[28:29], v[24:25], s[12:13], -v[26:27]
	s_mov_b32 s12, 0x3b39803f
	s_mov_b32 s13, 0x3c7abc9e
	v_fmac_f64_e32 v[28:29], s[12:13], v[24:25]
	v_add_f64 v[24:25], v[26:27], v[28:29]
	v_add_f64 v[26:27], v[24:25], -v[26:27]
	v_add_f64 v[26:27], v[28:29], -v[26:27]
	v_add_f64 v[28:29], v[24:25], v[22:23]
	v_add_f64 v[30:31], v[28:29], -v[24:25]
	v_add_f64 v[32:33], v[28:29], -v[30:31]
	;; [unrolled: 1-line block ×4, first 2 shown]
	v_add_f64 v[22:23], v[22:23], v[24:25]
	v_add_f64 v[24:25], v[26:27], v[20:21]
	v_add_f64 v[30:31], v[24:25], -v[26:27]
	v_add_f64 v[32:33], v[24:25], -v[30:31]
	v_add_f64 v[22:23], v[24:25], v[22:23]
	v_add_f64 v[26:27], v[26:27], -v[32:33]
	v_add_f64 v[20:21], v[20:21], -v[30:31]
	v_add_f64 v[24:25], v[28:29], v[22:23]
	v_add_f64 v[20:21], v[20:21], v[26:27]
	v_add_f64 v[26:27], v[24:25], -v[28:29]
	v_add_f64 v[22:23], v[22:23], -v[26:27]
	s_mov_b32 s12, 0
	v_add_f64 v[20:21], v[20:21], v[22:23]
	s_mov_b32 s13, 0x7ff00000
	v_add_f64 v[20:21], v[24:25], v[20:21]
	v_cmp_eq_f64_e32 vcc, s[12:13], v[10:11]
	v_cndmask_b32_e32 v17, v20, v10, vcc
	v_cndmask_b32_e32 v20, v21, v11, vcc
	v_mov_b32_e32 v21, 0xfff00000
	v_cmp_neq_f64_e32 vcc, 0, v[10:11]
	v_cndmask_b32_e32 v11, v21, v20, vcc
	v_cndmask_b32_e32 v10, 0, v17, vcc
	v_mul_f64 v[10:11], v[10:11], v[14:15]
	v_fma_f64 v[10:11], v[18:19], 0.5, -v[10:11]
.LBB1_32:
	s_andn2_saveexec_b64 s[10:11], s[10:11]
	s_cbranch_execz .LBB1_34
; %bb.33:
	s_mov_b32 s12, 0
	s_mov_b32 s13, 0x40200000
	v_div_scale_f64 v[10:11], s[14:15], v[6:7], v[6:7], s[12:13]
	v_rcp_f64_e32 v[14:15], v[10:11]
	v_mov_b32_e32 v22, 0xfca7ab0c
	v_mov_b32_e32 v23, 0x3e928af3
	;; [unrolled: 1-line block ×3, first 2 shown]
	v_fma_f64 v[18:19], -v[10:11], v[14:15], 1.0
	v_fmac_f64_e32 v[14:15], v[14:15], v[18:19]
	v_fma_f64 v[18:19], -v[10:11], v[14:15], 1.0
	v_fmac_f64_e32 v[14:15], v[14:15], v[18:19]
	v_div_scale_f64 v[18:19], vcc, s[12:13], v[6:7], s[12:13]
	v_mul_f64 v[20:21], v[18:19], v[14:15]
	v_fma_f64 v[10:11], -v[10:11], v[20:21], v[18:19]
	v_mov_b32_e32 v18, 0xcf8c9ee1
	s_nop 0
	v_div_fmas_f64 v[10:11], v[10:11], v[14:15], v[20:21]
	v_div_fixup_f64 v[10:11], v[10:11], v[6:7], s[12:13]
	s_mov_b32 s12, 0xcf8c9ee1
	v_add_f64 v[10:11], v[10:11], -2.0
	v_mov_b32_e32 v14, 0x93812603
	v_mov_b32_e32 v15, 0xbc72fecc
	s_mov_b32 s13, 0x3c5871a5
	v_fmac_f64_e32 v[14:15], s[12:13], v[10:11]
	v_mov_b32_e32 v19, 0xbc5871a5
	s_mov_b32 s12, 0x41a8cdf4
	v_fmac_f64_e32 v[18:19], v[10:11], v[14:15]
	s_mov_b32 s13, 0x3c8e092e
	v_add_f64 v[18:19], v[18:19], s[12:13]
	s_mov_b32 s12, 0x74d77641
	v_fma_f64 v[14:15], v[10:11], v[18:19], -v[14:15]
	s_mov_b32 s13, 0xbca82f94
	v_add_f64 v[14:15], v[14:15], s[12:13]
	s_mov_b32 s12, 0x6b94785b
	v_fma_f64 v[18:19], v[10:11], v[14:15], -v[18:19]
	;; [unrolled: 4-line block ×22, first 2 shown]
	s_mov_b32 s13, 0x400385bd
	v_add_f64 v[10:11], v[10:11], s[12:13]
	s_mov_b32 s12, 0x652b82fe
	s_mov_b32 s13, 0xbff71547
	v_mul_f64 v[14:15], v[6:7], s[12:13]
	s_mov_b32 s12, 0xfefa39ef
	v_rndne_f64_e32 v[14:15], v[14:15]
	s_mov_b32 s13, 0xbfe62e42
	v_fma_f64 v[20:21], v[14:15], s[12:13], -v[6:7]
	s_mov_b32 s12, 0x3b39803f
	s_mov_b32 s13, 0xbc7abc9e
	v_fmac_f64_e32 v[20:21], s[12:13], v[14:15]
	s_mov_b32 s12, 0x6a5dcb37
	s_mov_b32 s13, 0x3e5ade15
	v_fmac_f64_e32 v[22:23], s[12:13], v[20:21]
	v_mov_b32_e32 v25, 0x3ec71dee
	v_fmac_f64_e32 v[24:25], v[20:21], v[22:23]
	v_mov_b32_e32 v22, 0x7c89e6b0
	v_mov_b32_e32 v23, 0x3efa0199
	v_fmac_f64_e32 v[22:23], v[20:21], v[24:25]
	v_mov_b32_e32 v24, 0x14761f6e
	;; [unrolled: 3-line block ×7, first 2 shown]
	v_mov_b32_e32 v23, 0x3fe00000
	v_fmac_f64_e32 v[22:23], v[20:21], v[24:25]
	s_mov_b32 s12, 0
	v_fma_f64 v[22:23], v[20:21], v[22:23], 1.0
	s_mov_b32 s13, 0x4090cc00
	v_fma_f64 v[20:21], v[20:21], v[22:23], 1.0
	v_cvt_i32_f64_e32 v14, v[14:15]
	v_cmp_nlt_f64_e32 vcc, s[12:13], v[6:7]
	s_mov_b32 s12, 0
	v_ldexp_f64 v[14:15], v[20:21], v14
	s_brev_b32 s13, 8
	v_cndmask_b32_e32 v15, 0, v15, vcc
	v_cndmask_b32_e32 v14, 0, v14, vcc
	v_cmp_gt_f64_e32 vcc, s[12:13], v[6:7]
	v_cndmask_b32_e64 v17, 0, 1, vcc
	v_lshlrev_b32_e32 v17, 8, v17
	v_ldexp_f64 v[6:7], v[6:7], v17
	v_rsq_f64_e32 v[20:21], v[6:7]
	v_add_f64 v[10:11], v[10:11], -v[18:19]
	v_mul_f64 v[10:11], v[10:11], 0.5
	v_mul_f64 v[10:11], v[14:15], v[10:11]
	v_mul_f64 v[14:15], v[6:7], v[20:21]
	v_mul_f64 v[18:19], v[20:21], 0.5
	v_fma_f64 v[20:21], -v[18:19], v[14:15], 0.5
	v_fmac_f64_e32 v[14:15], v[14:15], v[20:21]
	v_fma_f64 v[22:23], -v[14:15], v[14:15], v[6:7]
	v_fmac_f64_e32 v[18:19], v[18:19], v[20:21]
	v_fmac_f64_e32 v[14:15], v[22:23], v[18:19]
	v_fma_f64 v[20:21], -v[14:15], v[14:15], v[6:7]
	v_mov_b32_e32 v17, 0xffffff80
	v_fmac_f64_e32 v[14:15], v[20:21], v[18:19]
	v_cndmask_b32_e32 v17, 0, v17, vcc
	v_ldexp_f64 v[14:15], v[14:15], v17
	v_mov_b32_e32 v17, 0x260
	v_cmp_class_f64_e32 vcc, v[6:7], v17
	v_cndmask_b32_e32 v7, v15, v7, vcc
	v_cndmask_b32_e32 v6, v14, v6, vcc
	v_div_scale_f64 v[14:15], s[12:13], v[6:7], v[6:7], v[10:11]
	v_rcp_f64_e32 v[18:19], v[14:15]
	v_fma_f64 v[20:21], -v[14:15], v[18:19], 1.0
	v_fmac_f64_e32 v[18:19], v[18:19], v[20:21]
	v_fma_f64 v[20:21], -v[14:15], v[18:19], 1.0
	v_fmac_f64_e32 v[18:19], v[18:19], v[20:21]
	v_div_scale_f64 v[20:21], vcc, v[10:11], v[6:7], v[10:11]
	v_mul_f64 v[22:23], v[20:21], v[18:19]
	v_fma_f64 v[14:15], -v[14:15], v[22:23], v[20:21]
	s_nop 1
	v_div_fmas_f64 v[14:15], v[14:15], v[18:19], v[22:23]
	v_div_fixup_f64 v[10:11], v[14:15], v[6:7], v[10:11]
.LBB1_34:
	s_or_b64 exec, exec, s[10:11]
.LBB1_35:
	s_or_b64 exec, exec, s[8:9]
.LBB1_36:
	s_or_b64 exec, exec, s[6:7]
	v_cmp_neq_f64_e32 vcc, 0, v[8:9]
	s_and_saveexec_b64 s[6:7], vcc
	s_cbranch_execz .LBB1_48
; %bb.37:
	v_mov_b32_e32 v12, 0
	v_cmp_ngt_f64_e32 vcc, 0, v[8:9]
	v_mov_b32_e32 v13, 0x7ff80000
	s_and_saveexec_b64 s[8:9], vcc
	s_cbranch_execz .LBB1_47
; %bb.38:
	v_cmp_ge_f64_e32 vcc, 2.0, v[8:9]
	s_and_saveexec_b64 s[10:11], vcc
	s_xor_b64 s[10:11], exec, s[10:11]
	s_cbranch_execz .LBB1_44
; %bb.39:
	s_mov_b32 s12, 0
	s_mov_b32 s13, 0x40200000
	v_mul_f64 v[6:7], v[8:9], 0.5
	v_cmp_ge_f64_e32 vcc, s[12:13], v[8:9]
                                        ; implicit-def: $vgpr12_vgpr13
	s_and_saveexec_b64 s[12:13], vcc
	s_xor_b64 s[12:13], exec, s[12:13]
	s_cbranch_execz .LBB1_41
; %bb.40:
	s_mov_b32 s14, 0x2134d0ef
	v_add_f64 v[12:13], v[6:7], -2.0
	v_mov_b32_e32 v14, 0x977da589
	v_mov_b32_e32 v15, 0x3c833362
	s_mov_b32 s15, 0xbc545cb7
	v_fmac_f64_e32 v[14:15], s[14:15], v[12:13]
	v_mov_b32_e32 v18, 0x2134d0ef
	v_mov_b32_e32 v19, 0x3c545cb7
	s_mov_b32 s14, 0x721ebbb4
	v_fmac_f64_e32 v[18:19], v[12:13], v[14:15]
	s_mov_b32 s15, 0xbcb184eb
	v_add_f64 v[18:19], v[18:19], s[14:15]
	s_mov_b32 s14, 0x93f65eba
	v_fma_f64 v[14:15], v[12:13], v[18:19], -v[14:15]
	s_mov_b32 s15, 0x3cdee6d8
	v_add_f64 v[14:15], v[14:15], s[14:15]
	s_mov_b32 s14, 0xc297fbeb
	v_fma_f64 v[18:19], v[12:13], v[14:15], -v[18:19]
	;; [unrolled: 4-line block ×27, first 2 shown]
	s_mov_b32 s15, 0x3fe5a84e
	v_add_f64 v[12:13], v[12:13], s[14:15]
	s_mov_b32 s14, 0x652b82fe
	s_mov_b32 s15, 0x3ff71547
	v_mul_f64 v[18:19], v[8:9], s[14:15]
	s_mov_b32 s14, 0xfefa39ef
	v_rndne_f64_e32 v[18:19], v[18:19]
	s_mov_b32 s15, 0xbfe62e42
	v_fma_f64 v[20:21], s[14:15], v[18:19], v[8:9]
	s_mov_b32 s14, 0x3b39803f
	s_mov_b32 s15, 0xbc7abc9e
	v_fmac_f64_e32 v[20:21], s[14:15], v[18:19]
	s_mov_b32 s14, 0x6a5dcb37
	v_mov_b32_e32 v22, 0xfca7ab0c
	v_mov_b32_e32 v23, 0x3e928af3
	s_mov_b32 s15, 0x3e5ade15
	v_fmac_f64_e32 v[22:23], s[14:15], v[20:21]
	v_mov_b32_e32 v24, 0x623fde64
	v_mov_b32_e32 v25, 0x3ec71dee
	v_fmac_f64_e32 v[24:25], v[20:21], v[22:23]
	v_mov_b32_e32 v22, 0x7c89e6b0
	v_mov_b32_e32 v23, 0x3efa0199
	;; [unrolled: 3-line block ×8, first 2 shown]
	v_fmac_f64_e32 v[22:23], v[20:21], v[24:25]
	v_fma_f64 v[22:23], v[20:21], v[22:23], 1.0
	s_mov_b32 s14, 0
	v_fma_f64 v[20:21], v[20:21], v[22:23], 1.0
	v_cvt_i32_f64_e32 v17, v[18:19]
	s_mov_b32 s15, 0x40900000
	v_ldexp_f64 v[18:19], v[20:21], v17
	v_mov_b32_e32 v17, 0x7ff00000
	v_cmp_nlt_f64_e32 vcc, s[14:15], v[8:9]
	v_add_f64 v[12:13], v[12:13], -v[14:15]
	v_cndmask_b32_e32 v19, v17, v19, vcc
	v_cndmask_b32_e32 v18, 0, v18, vcc
	v_mul_f64 v[12:13], v[12:13], 0.5
	v_mul_f64 v[12:13], v[18:19], v[12:13]
.LBB1_41:
	s_andn2_saveexec_b64 s[12:13], s[12:13]
	s_cbranch_execz .LBB1_43
; %bb.42:
	s_mov_b32 s14, 0
	s_mov_b32 s15, 0x40400000
	v_div_scale_f64 v[12:13], s[16:17], v[8:9], v[8:9], s[14:15]
	v_rcp_f64_e32 v[14:15], v[12:13]
	v_mov_b32_e32 v22, 0xfca7ab0c
	v_mov_b32_e32 v23, 0x3e928af3
	;; [unrolled: 1-line block ×3, first 2 shown]
	v_fma_f64 v[18:19], -v[12:13], v[14:15], 1.0
	v_fmac_f64_e32 v[14:15], v[14:15], v[18:19]
	v_fma_f64 v[18:19], -v[12:13], v[14:15], 1.0
	v_fmac_f64_e32 v[14:15], v[14:15], v[18:19]
	v_div_scale_f64 v[18:19], vcc, s[14:15], v[8:9], s[14:15]
	v_mul_f64 v[20:21], v[18:19], v[14:15]
	v_fma_f64 v[12:13], -v[12:13], v[20:21], v[18:19]
	v_mov_b32_e32 v18, 0x54ca8b19
	s_nop 0
	v_div_fmas_f64 v[12:13], v[12:13], v[14:15], v[20:21]
	v_div_fixup_f64 v[12:13], v[12:13], v[8:9], s[14:15]
	s_mov_b32 s14, 0x54ca8b19
	v_add_f64 v[12:13], v[12:13], -2.0
	v_mov_b32_e32 v14, 0x66119130
	v_mov_b32_e32 v15, 0xbc5646da
	s_mov_b32 s15, 0xbc60adb7
	v_fmac_f64_e32 v[14:15], s[14:15], v[12:13]
	v_mov_b32_e32 v19, 0x3c60adb7
	s_mov_b32 s14, 0x12d98421
	v_fmac_f64_e32 v[18:19], v[12:13], v[14:15]
	s_mov_b32 s15, 0x3c89be18
	v_add_f64 v[18:19], v[18:19], s[14:15]
	s_mov_b32 s14, 0x76041cd
	v_fma_f64 v[14:15], v[12:13], v[18:19], -v[14:15]
	s_mov_b32 s15, 0x3c83f3dd
	v_add_f64 v[14:15], v[14:15], s[14:15]
	s_mov_b32 s14, 0xabd21fe4
	v_fma_f64 v[18:19], v[12:13], v[14:15], -v[18:19]
	;; [unrolled: 4-line block ×22, first 2 shown]
	s_mov_b32 s15, 0x3fe9be62
	v_add_f64 v[12:13], v[12:13], s[14:15]
	s_mov_b32 s14, 0x652b82fe
	s_mov_b32 s15, 0x3ff71547
	v_mul_f64 v[14:15], v[8:9], s[14:15]
	s_mov_b32 s14, 0xfefa39ef
	v_rndne_f64_e32 v[14:15], v[14:15]
	s_mov_b32 s15, 0xbfe62e42
	v_fma_f64 v[20:21], s[14:15], v[14:15], v[8:9]
	s_mov_b32 s14, 0x3b39803f
	s_mov_b32 s15, 0xbc7abc9e
	v_fmac_f64_e32 v[20:21], s[14:15], v[14:15]
	s_mov_b32 s14, 0x6a5dcb37
	s_mov_b32 s15, 0x3e5ade15
	v_fmac_f64_e32 v[22:23], s[14:15], v[20:21]
	v_mov_b32_e32 v25, 0x3ec71dee
	v_fmac_f64_e32 v[24:25], v[20:21], v[22:23]
	v_mov_b32_e32 v22, 0x7c89e6b0
	v_mov_b32_e32 v23, 0x3efa0199
	v_fmac_f64_e32 v[22:23], v[20:21], v[24:25]
	v_mov_b32_e32 v24, 0x14761f6e
	;; [unrolled: 3-line block ×7, first 2 shown]
	v_mov_b32_e32 v23, 0x3fe00000
	v_fmac_f64_e32 v[22:23], v[20:21], v[24:25]
	s_mov_b32 s14, 0
	v_fma_f64 v[22:23], v[20:21], v[22:23], 1.0
	s_mov_b32 s15, 0x40900000
	v_fma_f64 v[20:21], v[20:21], v[22:23], 1.0
	v_cvt_i32_f64_e32 v14, v[14:15]
	v_cmp_nlt_f64_e32 vcc, s[14:15], v[8:9]
	s_mov_b32 s14, 0
	v_ldexp_f64 v[14:15], v[20:21], v14
	v_mov_b32_e32 v17, 0x7ff00000
	s_brev_b32 s15, 8
	v_cndmask_b32_e32 v15, v17, v15, vcc
	v_cndmask_b32_e32 v14, 0, v14, vcc
	v_cmp_gt_f64_e32 vcc, s[14:15], v[8:9]
	v_cndmask_b32_e64 v17, 0, 1, vcc
	v_lshlrev_b32_e32 v17, 8, v17
	v_ldexp_f64 v[20:21], v[8:9], v17
	v_rsq_f64_e32 v[22:23], v[20:21]
	v_add_f64 v[12:13], v[12:13], -v[18:19]
	v_mul_f64 v[12:13], v[12:13], 0.5
	v_mul_f64 v[12:13], v[14:15], v[12:13]
	v_mul_f64 v[14:15], v[20:21], v[22:23]
	v_mul_f64 v[18:19], v[22:23], 0.5
	v_fma_f64 v[22:23], -v[18:19], v[14:15], 0.5
	v_fmac_f64_e32 v[14:15], v[14:15], v[22:23]
	v_fma_f64 v[24:25], -v[14:15], v[14:15], v[20:21]
	v_fmac_f64_e32 v[18:19], v[18:19], v[22:23]
	v_fmac_f64_e32 v[14:15], v[24:25], v[18:19]
	v_fma_f64 v[22:23], -v[14:15], v[14:15], v[20:21]
	v_mov_b32_e32 v17, 0xffffff80
	v_fmac_f64_e32 v[14:15], v[22:23], v[18:19]
	v_cndmask_b32_e32 v17, 0, v17, vcc
	v_ldexp_f64 v[14:15], v[14:15], v17
	v_mov_b32_e32 v17, 0x260
	v_cmp_class_f64_e32 vcc, v[20:21], v17
	v_cndmask_b32_e32 v15, v15, v21, vcc
	v_cndmask_b32_e32 v14, v14, v20, vcc
	v_div_scale_f64 v[18:19], s[14:15], v[14:15], v[14:15], v[12:13]
	v_rcp_f64_e32 v[20:21], v[18:19]
	v_fma_f64 v[22:23], -v[18:19], v[20:21], 1.0
	v_fmac_f64_e32 v[20:21], v[20:21], v[22:23]
	v_fma_f64 v[22:23], -v[18:19], v[20:21], 1.0
	v_fmac_f64_e32 v[20:21], v[20:21], v[22:23]
	v_div_scale_f64 v[22:23], vcc, v[12:13], v[14:15], v[12:13]
	v_mul_f64 v[24:25], v[22:23], v[20:21]
	v_fma_f64 v[18:19], -v[18:19], v[24:25], v[22:23]
	s_nop 1
	v_div_fmas_f64 v[18:19], v[18:19], v[20:21], v[24:25]
	v_div_fixup_f64 v[12:13], v[18:19], v[14:15], v[12:13]
.LBB1_43:
	s_or_b64 exec, exec, s[12:13]
	s_mov_b32 s12, 0xe6a7fd77
	v_fma_f64 v[8:9], v[8:9], v[8:9], -2.0
	v_mov_b32_e32 v14, 0xc384c2aa
	v_mov_b32_e32 v15, 0x3d27fb0a
	s_mov_b32 s13, 0x3ca3cee1
	v_fmac_f64_e32 v[14:15], s[12:13], v[8:9]
	v_mov_b32_e32 v18, 0xe6a7fd77
	v_mov_b32_e32 v19, 0xbca3cee1
	s_mov_b32 s12, 0x47512144
	v_fmac_f64_e32 v[18:19], v[8:9], v[14:15]
	s_mov_b32 s13, 0x3da6c25c
	v_add_f64 v[18:19], v[18:19], s[12:13]
	s_mov_b32 s12, 0x67e58a13
	v_fma_f64 v[14:15], v[8:9], v[18:19], -v[14:15]
	s_mov_b32 s13, 0x3e205c13
	v_add_f64 v[14:15], v[14:15], s[12:13]
	s_mov_b32 s12, 0xe7f95efc
	v_fma_f64 v[18:19], v[8:9], v[14:15], -v[18:19]
	;; [unrolled: 4-line block ×7, first 2 shown]
	s_mov_b32 s13, 0xbfe12166
	v_add_f64 v[8:9], v[8:9], s[12:13]
	s_mov_b32 s12, 0x55555555
	v_add_f64 v[8:9], v[8:9], -v[14:15]
	v_frexp_mant_f64_e32 v[14:15], v[6:7]
	s_mov_b32 s13, 0x3fe55555
	v_mov_b32_e32 v18, 0x3ff00000
	v_cmp_gt_f64_e32 vcc, s[12:13], v[14:15]
	v_cndmask_b32_e64 v19, v18, 2.0, vcc
	v_mov_b32_e32 v18, 0
	v_mul_f64 v[14:15], v[14:15], v[18:19]
	v_add_f64 v[18:19], v[14:15], 1.0
	v_rcp_f64_e32 v[20:21], v[18:19]
	v_add_f64 v[24:25], v[18:19], -1.0
	v_add_f64 v[22:23], v[14:15], -1.0
	v_add_f64 v[14:15], v[14:15], -v[24:25]
	v_fma_f64 v[24:25], -v[18:19], v[20:21], 1.0
	v_fmac_f64_e32 v[20:21], v[24:25], v[20:21]
	v_fma_f64 v[24:25], -v[18:19], v[20:21], 1.0
	v_fmac_f64_e32 v[20:21], v[24:25], v[20:21]
	v_mul_f64 v[24:25], v[22:23], v[20:21]
	v_mul_f64 v[26:27], v[18:19], v[24:25]
	v_fma_f64 v[18:19], v[24:25], v[18:19], -v[26:27]
	v_fmac_f64_e32 v[18:19], v[24:25], v[14:15]
	v_add_f64 v[14:15], v[26:27], v[18:19]
	v_add_f64 v[28:29], v[22:23], -v[14:15]
	v_add_f64 v[26:27], v[14:15], -v[26:27]
	;; [unrolled: 1-line block ×5, first 2 shown]
	v_add_f64 v[14:15], v[18:19], v[14:15]
	v_add_f64 v[14:15], v[28:29], v[14:15]
	v_mul_f64 v[14:15], v[20:21], v[14:15]
	v_add_f64 v[18:19], v[24:25], v[14:15]
	v_add_f64 v[20:21], v[18:19], -v[24:25]
	s_mov_b32 s12, 0xbf559e2b
	v_add_f64 v[14:15], v[14:15], -v[20:21]
	v_mul_f64 v[20:21], v[18:19], v[18:19]
	v_mov_b32_e32 v22, 0x6b47b09a
	v_mov_b32_e32 v23, 0x3fc38538
	s_mov_b32 s13, 0x3fc3ab76
	v_fmac_f64_e32 v[22:23], s[12:13], v[20:21]
	v_mov_b32_e32 v24, 0xd7f4df2e
	v_mov_b32_e32 v25, 0x3fc7474d
	v_fmac_f64_e32 v[24:25], v[20:21], v[22:23]
	v_mov_b32_e32 v22, 0x16291751
	v_mov_b32_e32 v23, 0x3fcc71c0
	;; [unrolled: 3-line block ×5, first 2 shown]
	v_fmac_f64_e32 v[24:25], v[20:21], v[22:23]
	v_ldexp_f64 v[22:23], v[18:19], 1
	v_mul_f64 v[18:19], v[18:19], v[20:21]
	v_mul_f64 v[18:19], v[18:19], v[24:25]
	v_add_f64 v[20:21], v[22:23], v[18:19]
	v_add_f64 v[22:23], v[20:21], -v[22:23]
	v_ldexp_f64 v[14:15], v[14:15], 1
	v_add_f64 v[18:19], v[18:19], -v[22:23]
	v_add_f64 v[14:15], v[14:15], v[18:19]
	v_frexp_exp_i32_f64_e32 v17, v[6:7]
	v_add_f64 v[18:19], v[20:21], v[14:15]
	v_subbrev_co_u32_e32 v17, vcc, 0, v17, vcc
	v_add_f64 v[20:21], v[18:19], -v[20:21]
	s_mov_b32 s12, 0xfefa39ef
	v_add_f64 v[14:15], v[14:15], -v[20:21]
	v_cvt_f64_i32_e32 v[20:21], v17
	s_mov_b32 s13, 0x3fe62e42
	v_mul_f64 v[22:23], v[20:21], s[12:13]
	v_fma_f64 v[24:25], v[20:21], s[12:13], -v[22:23]
	s_mov_b32 s12, 0x3b39803f
	s_mov_b32 s13, 0x3c7abc9e
	v_fmac_f64_e32 v[24:25], s[12:13], v[20:21]
	v_add_f64 v[20:21], v[22:23], v[24:25]
	v_add_f64 v[22:23], v[20:21], -v[22:23]
	v_add_f64 v[22:23], v[24:25], -v[22:23]
	v_add_f64 v[24:25], v[20:21], v[18:19]
	v_add_f64 v[26:27], v[24:25], -v[20:21]
	v_add_f64 v[28:29], v[24:25], -v[26:27]
	;; [unrolled: 1-line block ×4, first 2 shown]
	v_add_f64 v[18:19], v[18:19], v[20:21]
	v_add_f64 v[20:21], v[22:23], v[14:15]
	v_add_f64 v[26:27], v[20:21], -v[22:23]
	v_add_f64 v[28:29], v[20:21], -v[26:27]
	v_add_f64 v[18:19], v[20:21], v[18:19]
	v_add_f64 v[22:23], v[22:23], -v[28:29]
	v_add_f64 v[14:15], v[14:15], -v[26:27]
	v_add_f64 v[20:21], v[24:25], v[18:19]
	v_add_f64 v[14:15], v[14:15], v[22:23]
	v_add_f64 v[22:23], v[20:21], -v[24:25]
	v_add_f64 v[18:19], v[18:19], -v[22:23]
	s_mov_b32 s12, 0
	v_add_f64 v[14:15], v[14:15], v[18:19]
	s_mov_b32 s13, 0x7ff00000
	v_add_f64 v[14:15], v[20:21], v[14:15]
	v_cmp_eq_f64_e32 vcc, s[12:13], v[6:7]
	v_cndmask_b32_e32 v14, v14, v6, vcc
	v_cndmask_b32_e32 v15, v15, v7, vcc
	v_mov_b32_e32 v17, 0xfff00000
	v_cmp_neq_f64_e32 vcc, 0, v[6:7]
	v_cndmask_b32_e32 v7, v17, v15, vcc
	v_cndmask_b32_e32 v6, 0, v14, vcc
	v_mul_f64 v[6:7], v[6:7], v[12:13]
	v_fma_f64 v[12:13], v[8:9], 0.5, -v[6:7]
                                        ; implicit-def: $vgpr8_vgpr9
.LBB1_44:
	s_andn2_saveexec_b64 s[10:11], s[10:11]
	s_cbranch_execz .LBB1_46
; %bb.45:
	s_mov_b32 s12, 0
	s_mov_b32 s13, 0x40200000
	v_div_scale_f64 v[6:7], s[14:15], v[8:9], v[8:9], s[12:13]
	v_rcp_f64_e32 v[12:13], v[6:7]
	v_mov_b32_e32 v20, 0xfca7ab0c
	v_mov_b32_e32 v21, 0x3e928af3
	;; [unrolled: 1-line block ×3, first 2 shown]
	v_fma_f64 v[14:15], -v[6:7], v[12:13], 1.0
	v_fmac_f64_e32 v[12:13], v[12:13], v[14:15]
	v_fma_f64 v[14:15], -v[6:7], v[12:13], 1.0
	v_fmac_f64_e32 v[12:13], v[12:13], v[14:15]
	v_div_scale_f64 v[14:15], vcc, s[12:13], v[8:9], s[12:13]
	v_mul_f64 v[18:19], v[14:15], v[12:13]
	v_fma_f64 v[6:7], -v[6:7], v[18:19], v[14:15]
	v_mov_b32_e32 v14, 0xcf8c9ee1
	s_nop 0
	v_div_fmas_f64 v[6:7], v[6:7], v[12:13], v[18:19]
	v_div_fixup_f64 v[6:7], v[6:7], v[8:9], s[12:13]
	s_mov_b32 s12, 0xcf8c9ee1
	v_add_f64 v[6:7], v[6:7], -2.0
	v_mov_b32_e32 v12, 0x93812603
	v_mov_b32_e32 v13, 0xbc72fecc
	s_mov_b32 s13, 0x3c5871a5
	v_fmac_f64_e32 v[12:13], s[12:13], v[6:7]
	v_mov_b32_e32 v15, 0xbc5871a5
	s_mov_b32 s12, 0x41a8cdf4
	v_fmac_f64_e32 v[14:15], v[6:7], v[12:13]
	s_mov_b32 s13, 0x3c8e092e
	v_add_f64 v[14:15], v[14:15], s[12:13]
	s_mov_b32 s12, 0x74d77641
	v_fma_f64 v[12:13], v[6:7], v[14:15], -v[12:13]
	s_mov_b32 s13, 0xbca82f94
	v_add_f64 v[12:13], v[12:13], s[12:13]
	s_mov_b32 s12, 0x6b94785b
	v_fma_f64 v[14:15], v[6:7], v[12:13], -v[14:15]
	;; [unrolled: 4-line block ×22, first 2 shown]
	s_mov_b32 s13, 0x400385bd
	v_add_f64 v[6:7], v[6:7], s[12:13]
	s_mov_b32 s12, 0x652b82fe
	s_mov_b32 s13, 0xbff71547
	v_mul_f64 v[12:13], v[8:9], s[12:13]
	s_mov_b32 s12, 0xfefa39ef
	v_rndne_f64_e32 v[12:13], v[12:13]
	s_mov_b32 s13, 0xbfe62e42
	v_fma_f64 v[18:19], v[12:13], s[12:13], -v[8:9]
	s_mov_b32 s12, 0x3b39803f
	s_mov_b32 s13, 0xbc7abc9e
	v_fmac_f64_e32 v[18:19], s[12:13], v[12:13]
	s_mov_b32 s12, 0x6a5dcb37
	s_mov_b32 s13, 0x3e5ade15
	v_fmac_f64_e32 v[20:21], s[12:13], v[18:19]
	v_mov_b32_e32 v23, 0x3ec71dee
	v_fmac_f64_e32 v[22:23], v[18:19], v[20:21]
	v_mov_b32_e32 v20, 0x7c89e6b0
	v_mov_b32_e32 v21, 0x3efa0199
	v_fmac_f64_e32 v[20:21], v[18:19], v[22:23]
	v_mov_b32_e32 v22, 0x14761f6e
	;; [unrolled: 3-line block ×7, first 2 shown]
	v_mov_b32_e32 v21, 0x3fe00000
	v_fmac_f64_e32 v[20:21], v[18:19], v[22:23]
	s_mov_b32 s12, 0
	v_fma_f64 v[20:21], v[18:19], v[20:21], 1.0
	s_mov_b32 s13, 0x4090cc00
	v_fma_f64 v[18:19], v[18:19], v[20:21], 1.0
	v_cvt_i32_f64_e32 v12, v[12:13]
	v_cmp_nlt_f64_e32 vcc, s[12:13], v[8:9]
	s_mov_b32 s12, 0
	v_ldexp_f64 v[12:13], v[18:19], v12
	s_brev_b32 s13, 8
	v_cndmask_b32_e32 v13, 0, v13, vcc
	v_cndmask_b32_e32 v12, 0, v12, vcc
	v_cmp_gt_f64_e32 vcc, s[12:13], v[8:9]
	v_cndmask_b32_e64 v17, 0, 1, vcc
	v_lshlrev_b32_e32 v17, 8, v17
	v_ldexp_f64 v[8:9], v[8:9], v17
	v_rsq_f64_e32 v[18:19], v[8:9]
	v_add_f64 v[6:7], v[6:7], -v[14:15]
	v_mul_f64 v[6:7], v[6:7], 0.5
	v_mul_f64 v[6:7], v[12:13], v[6:7]
	v_mul_f64 v[12:13], v[8:9], v[18:19]
	v_mul_f64 v[14:15], v[18:19], 0.5
	v_fma_f64 v[18:19], -v[14:15], v[12:13], 0.5
	v_fmac_f64_e32 v[12:13], v[12:13], v[18:19]
	v_fma_f64 v[20:21], -v[12:13], v[12:13], v[8:9]
	v_fmac_f64_e32 v[14:15], v[14:15], v[18:19]
	v_fmac_f64_e32 v[12:13], v[20:21], v[14:15]
	v_fma_f64 v[18:19], -v[12:13], v[12:13], v[8:9]
	v_fmac_f64_e32 v[12:13], v[18:19], v[14:15]
	v_mov_b32_e32 v14, 0xffffff80
	v_cndmask_b32_e32 v14, 0, v14, vcc
	v_ldexp_f64 v[12:13], v[12:13], v14
	v_mov_b32_e32 v14, 0x260
	v_cmp_class_f64_e32 vcc, v[8:9], v14
	v_cndmask_b32_e32 v9, v13, v9, vcc
	v_cndmask_b32_e32 v8, v12, v8, vcc
	v_div_scale_f64 v[12:13], s[12:13], v[8:9], v[8:9], v[6:7]
	v_rcp_f64_e32 v[14:15], v[12:13]
	v_fma_f64 v[18:19], -v[12:13], v[14:15], 1.0
	v_fmac_f64_e32 v[14:15], v[14:15], v[18:19]
	v_fma_f64 v[18:19], -v[12:13], v[14:15], 1.0
	v_fmac_f64_e32 v[14:15], v[14:15], v[18:19]
	v_div_scale_f64 v[18:19], vcc, v[6:7], v[8:9], v[6:7]
	v_mul_f64 v[20:21], v[18:19], v[14:15]
	v_fma_f64 v[12:13], -v[12:13], v[20:21], v[18:19]
	s_nop 1
	v_div_fmas_f64 v[12:13], v[12:13], v[14:15], v[20:21]
	v_div_fixup_f64 v[12:13], v[12:13], v[8:9], v[6:7]
.LBB1_46:
	s_or_b64 exec, exec, s[10:11]
.LBB1_47:
	s_or_b64 exec, exec, s[8:9]
.LBB1_48:
	s_or_b64 exec, exec, s[6:7]
	v_mov_b32_e32 v6, s5
	v_add_co_u32_e32 v0, vcc, s4, v0
	v_addc_co_u32_e32 v1, vcc, v1, v6, vcc
	v_add_co_u32_e32 v0, vcc, v0, v16
	v_addc_co_u32_e32 v1, vcc, 0, v1, vcc
	flat_store_dwordx4 v[0:1], v[2:5]
	flat_store_dwordx4 v[0:1], v[10:13] offset:16
	s_waitcnt vmcnt(0) lgkmcnt(0)
	s_setpc_b64 s[30:31]
.Lfunc_end1:
	.size	_ZN2at6native25elementwise_kernel_helperILb0EZZZNS0_12_GLOBAL__N_130modified_bessel_k0_kernel_cudaERNS_18TensorIteratorBaseEENKUlvE_clEvENKUlvE_clEvEUldE_NS0_6memory8policies10vectorizedILi4ESt5arrayIPcLm2EELi4EEEEEvT0_T1_, .Lfunc_end1-_ZN2at6native25elementwise_kernel_helperILb0EZZZNS0_12_GLOBAL__N_130modified_bessel_k0_kernel_cudaERNS_18TensorIteratorBaseEENKUlvE_clEvENKUlvE_clEvEUldE_NS0_6memory8policies10vectorizedILi4ESt5arrayIPcLm2EELi4EEEEEvT0_T1_
                                        ; -- End function
	.section	.AMDGPU.csdata,"",@progbits
; Function info:
; codeLenInByte = 21672
; NumSgprs: 36
; NumVgprs: 34
; NumAgprs: 0
; TotalNumVgprs: 34
; ScratchSize: 0
; MemoryBound: 0
	.section	.text._ZN2at6native29vectorized_elementwise_kernelILi16EZZZNS0_12_GLOBAL__N_130modified_bessel_k0_kernel_cudaERNS_18TensorIteratorBaseEENKUlvE_clEvENKUlvE_clEvEUldE_St5arrayIPcLm2EEEEviT0_T1_,"axG",@progbits,_ZN2at6native29vectorized_elementwise_kernelILi16EZZZNS0_12_GLOBAL__N_130modified_bessel_k0_kernel_cudaERNS_18TensorIteratorBaseEENKUlvE_clEvENKUlvE_clEvEUldE_St5arrayIPcLm2EEEEviT0_T1_,comdat
	.globl	_ZN2at6native29vectorized_elementwise_kernelILi16EZZZNS0_12_GLOBAL__N_130modified_bessel_k0_kernel_cudaERNS_18TensorIteratorBaseEENKUlvE_clEvENKUlvE_clEvEUldE_St5arrayIPcLm2EEEEviT0_T1_ ; -- Begin function _ZN2at6native29vectorized_elementwise_kernelILi16EZZZNS0_12_GLOBAL__N_130modified_bessel_k0_kernel_cudaERNS_18TensorIteratorBaseEENKUlvE_clEvENKUlvE_clEvEUldE_St5arrayIPcLm2EEEEviT0_T1_
	.p2align	8
	.type	_ZN2at6native29vectorized_elementwise_kernelILi16EZZZNS0_12_GLOBAL__N_130modified_bessel_k0_kernel_cudaERNS_18TensorIteratorBaseEENKUlvE_clEvENKUlvE_clEvEUldE_St5arrayIPcLm2EEEEviT0_T1_,@function
_ZN2at6native29vectorized_elementwise_kernelILi16EZZZNS0_12_GLOBAL__N_130modified_bessel_k0_kernel_cudaERNS_18TensorIteratorBaseEENKUlvE_clEvENKUlvE_clEvEUldE_St5arrayIPcLm2EEEEviT0_T1_: ; @_ZN2at6native29vectorized_elementwise_kernelILi16EZZZNS0_12_GLOBAL__N_130modified_bessel_k0_kernel_cudaERNS_18TensorIteratorBaseEENKUlvE_clEvENKUlvE_clEvEUldE_St5arrayIPcLm2EEEEviT0_T1_
; %bb.0:
	s_add_u32 flat_scratch_lo, s6, s9
	s_load_dword s6, s[4:5], 0x0
	s_load_dwordx4 s[20:23], s[4:5], 0x8
	s_addc_u32 flat_scratch_hi, s7, 0
	s_add_u32 s0, s0, s9
	s_addc_u32 s1, s1, 0
	s_lshl_b32 s4, s8, 10
	s_waitcnt lgkmcnt(0)
	s_sub_i32 s19, s6, s4
	s_mov_b32 s18, s8
	v_mov_b32_e32 v34, v0
	s_cmpk_gt_i32 s19, 0x3ff
	s_mov_b64 s[4:5], -1
	s_mov_b32 s32, 0
	s_cbranch_scc1 .LBB2_3
; %bb.1:
	s_andn2_b64 vcc, exec, s[4:5]
	s_cbranch_vccz .LBB2_4
.LBB2_2:
	s_endpgm
.LBB2_3:
	s_mov_b32 s12, s18
	v_mov_b32_e32 v31, v34
	v_mov_b32_e32 v0, s20
	;; [unrolled: 1-line block ×5, first 2 shown]
	s_getpc_b64 s[4:5]
	s_add_u32 s4, s4, _ZN2at6native25elementwise_kernel_helperILb0EZZZNS0_12_GLOBAL__N_130modified_bessel_k0_kernel_cudaERNS_18TensorIteratorBaseEENKUlvE_clEvENKUlvE_clEvEUldE_NS0_6memory8policies10vectorizedILi4ESt5arrayIPcLm2EELi4EEEEEvT0_T1_@rel32@lo+4
	s_addc_u32 s5, s5, _ZN2at6native25elementwise_kernel_helperILb0EZZZNS0_12_GLOBAL__N_130modified_bessel_k0_kernel_cudaERNS_18TensorIteratorBaseEENKUlvE_clEvENKUlvE_clEvEUldE_NS0_6memory8policies10vectorizedILi4ESt5arrayIPcLm2EELi4EEEEEvT0_T1_@rel32@hi+12
	s_swappc_b64 s[30:31], s[4:5]
	s_cbranch_execnz .LBB2_2
.LBB2_4:
	s_mov_b32 s12, s18
	v_mov_b32_e32 v31, v34
	v_mov_b32_e32 v0, s20
	v_mov_b32_e32 v1, s21
	v_mov_b32_e32 v2, s22
	v_mov_b32_e32 v3, s23
	v_mov_b32_e32 v4, s19
	s_getpc_b64 s[4:5]
	s_add_u32 s4, s4, _ZN2at6native25elementwise_kernel_helperILb0EZZZNS0_12_GLOBAL__N_130modified_bessel_k0_kernel_cudaERNS_18TensorIteratorBaseEENKUlvE_clEvENKUlvE_clEvEUldE_NS0_6memory8policies11unroll_baseILi256ESt5arrayIPcLm2EE23TrivialOffsetCalculatorILi1EjESF_NS8_15LoadWithoutCastENS8_16StoreWithoutCastELi4ELi1EEEEEvT0_T1_@rel32@lo+4
	s_addc_u32 s5, s5, _ZN2at6native25elementwise_kernel_helperILb0EZZZNS0_12_GLOBAL__N_130modified_bessel_k0_kernel_cudaERNS_18TensorIteratorBaseEENKUlvE_clEvENKUlvE_clEvEUldE_NS0_6memory8policies11unroll_baseILi256ESt5arrayIPcLm2EE23TrivialOffsetCalculatorILi1EjESF_NS8_15LoadWithoutCastENS8_16StoreWithoutCastELi4ELi1EEEEEvT0_T1_@rel32@hi+12
	s_swappc_b64 s[30:31], s[4:5]
	s_endpgm
	.section	.rodata,"a",@progbits
	.p2align	6, 0x0
	.amdhsa_kernel _ZN2at6native29vectorized_elementwise_kernelILi16EZZZNS0_12_GLOBAL__N_130modified_bessel_k0_kernel_cudaERNS_18TensorIteratorBaseEENKUlvE_clEvENKUlvE_clEvEUldE_St5arrayIPcLm2EEEEviT0_T1_
		.amdhsa_group_segment_fixed_size 0
		.amdhsa_private_segment_fixed_size 0
		.amdhsa_kernarg_size 24
		.amdhsa_user_sgpr_count 8
		.amdhsa_user_sgpr_private_segment_buffer 1
		.amdhsa_user_sgpr_dispatch_ptr 0
		.amdhsa_user_sgpr_queue_ptr 0
		.amdhsa_user_sgpr_kernarg_segment_ptr 1
		.amdhsa_user_sgpr_dispatch_id 0
		.amdhsa_user_sgpr_flat_scratch_init 1
		.amdhsa_user_sgpr_kernarg_preload_length 0
		.amdhsa_user_sgpr_kernarg_preload_offset 0
		.amdhsa_user_sgpr_private_segment_size 0
		.amdhsa_uses_dynamic_stack 0
		.amdhsa_system_sgpr_private_segment_wavefront_offset 0
		.amdhsa_system_sgpr_workgroup_id_x 1
		.amdhsa_system_sgpr_workgroup_id_y 0
		.amdhsa_system_sgpr_workgroup_id_z 0
		.amdhsa_system_sgpr_workgroup_info 0
		.amdhsa_system_vgpr_workitem_id 0
		.amdhsa_next_free_vgpr 38
		.amdhsa_next_free_sgpr 33
		.amdhsa_accum_offset 40
		.amdhsa_reserve_vcc 1
		.amdhsa_reserve_flat_scratch 1
		.amdhsa_float_round_mode_32 0
		.amdhsa_float_round_mode_16_64 0
		.amdhsa_float_denorm_mode_32 3
		.amdhsa_float_denorm_mode_16_64 3
		.amdhsa_dx10_clamp 1
		.amdhsa_ieee_mode 1
		.amdhsa_fp16_overflow 0
		.amdhsa_tg_split 0
		.amdhsa_exception_fp_ieee_invalid_op 0
		.amdhsa_exception_fp_denorm_src 0
		.amdhsa_exception_fp_ieee_div_zero 0
		.amdhsa_exception_fp_ieee_overflow 0
		.amdhsa_exception_fp_ieee_underflow 0
		.amdhsa_exception_fp_ieee_inexact 0
		.amdhsa_exception_int_div_zero 0
	.end_amdhsa_kernel
	.section	.text._ZN2at6native29vectorized_elementwise_kernelILi16EZZZNS0_12_GLOBAL__N_130modified_bessel_k0_kernel_cudaERNS_18TensorIteratorBaseEENKUlvE_clEvENKUlvE_clEvEUldE_St5arrayIPcLm2EEEEviT0_T1_,"axG",@progbits,_ZN2at6native29vectorized_elementwise_kernelILi16EZZZNS0_12_GLOBAL__N_130modified_bessel_k0_kernel_cudaERNS_18TensorIteratorBaseEENKUlvE_clEvENKUlvE_clEvEUldE_St5arrayIPcLm2EEEEviT0_T1_,comdat
.Lfunc_end2:
	.size	_ZN2at6native29vectorized_elementwise_kernelILi16EZZZNS0_12_GLOBAL__N_130modified_bessel_k0_kernel_cudaERNS_18TensorIteratorBaseEENKUlvE_clEvENKUlvE_clEvEUldE_St5arrayIPcLm2EEEEviT0_T1_, .Lfunc_end2-_ZN2at6native29vectorized_elementwise_kernelILi16EZZZNS0_12_GLOBAL__N_130modified_bessel_k0_kernel_cudaERNS_18TensorIteratorBaseEENKUlvE_clEvENKUlvE_clEvEUldE_St5arrayIPcLm2EEEEviT0_T1_
                                        ; -- End function
	.section	.AMDGPU.csdata,"",@progbits
; Kernel info:
; codeLenInByte = 188
; NumSgprs: 39
; NumVgprs: 38
; NumAgprs: 0
; TotalNumVgprs: 38
; ScratchSize: 0
; MemoryBound: 0
; FloatMode: 240
; IeeeMode: 1
; LDSByteSize: 0 bytes/workgroup (compile time only)
; SGPRBlocks: 4
; VGPRBlocks: 4
; NumSGPRsForWavesPerEU: 39
; NumVGPRsForWavesPerEU: 38
; AccumOffset: 40
; Occupancy: 8
; WaveLimiterHint : 0
; COMPUTE_PGM_RSRC2:SCRATCH_EN: 0
; COMPUTE_PGM_RSRC2:USER_SGPR: 8
; COMPUTE_PGM_RSRC2:TRAP_HANDLER: 0
; COMPUTE_PGM_RSRC2:TGID_X_EN: 1
; COMPUTE_PGM_RSRC2:TGID_Y_EN: 0
; COMPUTE_PGM_RSRC2:TGID_Z_EN: 0
; COMPUTE_PGM_RSRC2:TIDIG_COMP_CNT: 0
; COMPUTE_PGM_RSRC3_GFX90A:ACCUM_OFFSET: 9
; COMPUTE_PGM_RSRC3_GFX90A:TG_SPLIT: 0
	.section	.text._ZN2at6native29vectorized_elementwise_kernelILi8EZZZNS0_12_GLOBAL__N_130modified_bessel_k0_kernel_cudaERNS_18TensorIteratorBaseEENKUlvE_clEvENKUlvE_clEvEUldE_St5arrayIPcLm2EEEEviT0_T1_,"axG",@progbits,_ZN2at6native29vectorized_elementwise_kernelILi8EZZZNS0_12_GLOBAL__N_130modified_bessel_k0_kernel_cudaERNS_18TensorIteratorBaseEENKUlvE_clEvENKUlvE_clEvEUldE_St5arrayIPcLm2EEEEviT0_T1_,comdat
	.globl	_ZN2at6native29vectorized_elementwise_kernelILi8EZZZNS0_12_GLOBAL__N_130modified_bessel_k0_kernel_cudaERNS_18TensorIteratorBaseEENKUlvE_clEvENKUlvE_clEvEUldE_St5arrayIPcLm2EEEEviT0_T1_ ; -- Begin function _ZN2at6native29vectorized_elementwise_kernelILi8EZZZNS0_12_GLOBAL__N_130modified_bessel_k0_kernel_cudaERNS_18TensorIteratorBaseEENKUlvE_clEvENKUlvE_clEvEUldE_St5arrayIPcLm2EEEEviT0_T1_
	.p2align	8
	.type	_ZN2at6native29vectorized_elementwise_kernelILi8EZZZNS0_12_GLOBAL__N_130modified_bessel_k0_kernel_cudaERNS_18TensorIteratorBaseEENKUlvE_clEvENKUlvE_clEvEUldE_St5arrayIPcLm2EEEEviT0_T1_,@function
_ZN2at6native29vectorized_elementwise_kernelILi8EZZZNS0_12_GLOBAL__N_130modified_bessel_k0_kernel_cudaERNS_18TensorIteratorBaseEENKUlvE_clEvENKUlvE_clEvEUldE_St5arrayIPcLm2EEEEviT0_T1_: ; @_ZN2at6native29vectorized_elementwise_kernelILi8EZZZNS0_12_GLOBAL__N_130modified_bessel_k0_kernel_cudaERNS_18TensorIteratorBaseEENKUlvE_clEvENKUlvE_clEvEUldE_St5arrayIPcLm2EEEEviT0_T1_
; %bb.0:
	s_add_u32 flat_scratch_lo, s6, s9
	s_load_dword s6, s[4:5], 0x0
	s_load_dwordx4 s[20:23], s[4:5], 0x8
	s_addc_u32 flat_scratch_hi, s7, 0
	s_add_u32 s0, s0, s9
	s_addc_u32 s1, s1, 0
	s_lshl_b32 s4, s8, 10
	s_waitcnt lgkmcnt(0)
	s_sub_i32 s19, s6, s4
	s_mov_b32 s18, s8
	v_mov_b32_e32 v34, v0
	s_cmpk_gt_i32 s19, 0x3ff
	s_mov_b64 s[4:5], -1
	s_mov_b32 s32, 0
	s_cbranch_scc1 .LBB3_3
; %bb.1:
	s_andn2_b64 vcc, exec, s[4:5]
	s_cbranch_vccz .LBB3_4
.LBB3_2:
	s_endpgm
.LBB3_3:
	s_mov_b32 s12, s18
	v_mov_b32_e32 v31, v34
	v_mov_b32_e32 v0, s20
	v_mov_b32_e32 v1, s21
	v_mov_b32_e32 v2, s22
	v_mov_b32_e32 v3, s23
	s_getpc_b64 s[4:5]
	s_add_u32 s4, s4, _ZN2at6native25elementwise_kernel_helperILb0EZZZNS0_12_GLOBAL__N_130modified_bessel_k0_kernel_cudaERNS_18TensorIteratorBaseEENKUlvE_clEvENKUlvE_clEvEUldE_NS0_6memory8policies10vectorizedILi4ESt5arrayIPcLm2EELi4EEEEEvT0_T1_@rel32@lo+4
	s_addc_u32 s5, s5, _ZN2at6native25elementwise_kernel_helperILb0EZZZNS0_12_GLOBAL__N_130modified_bessel_k0_kernel_cudaERNS_18TensorIteratorBaseEENKUlvE_clEvENKUlvE_clEvEUldE_NS0_6memory8policies10vectorizedILi4ESt5arrayIPcLm2EELi4EEEEEvT0_T1_@rel32@hi+12
	s_swappc_b64 s[30:31], s[4:5]
	s_cbranch_execnz .LBB3_2
.LBB3_4:
	s_mov_b32 s12, s18
	v_mov_b32_e32 v31, v34
	v_mov_b32_e32 v0, s20
	;; [unrolled: 1-line block ×6, first 2 shown]
	s_getpc_b64 s[4:5]
	s_add_u32 s4, s4, _ZN2at6native25elementwise_kernel_helperILb0EZZZNS0_12_GLOBAL__N_130modified_bessel_k0_kernel_cudaERNS_18TensorIteratorBaseEENKUlvE_clEvENKUlvE_clEvEUldE_NS0_6memory8policies11unroll_baseILi256ESt5arrayIPcLm2EE23TrivialOffsetCalculatorILi1EjESF_NS8_15LoadWithoutCastENS8_16StoreWithoutCastELi4ELi1EEEEEvT0_T1_@rel32@lo+4
	s_addc_u32 s5, s5, _ZN2at6native25elementwise_kernel_helperILb0EZZZNS0_12_GLOBAL__N_130modified_bessel_k0_kernel_cudaERNS_18TensorIteratorBaseEENKUlvE_clEvENKUlvE_clEvEUldE_NS0_6memory8policies11unroll_baseILi256ESt5arrayIPcLm2EE23TrivialOffsetCalculatorILi1EjESF_NS8_15LoadWithoutCastENS8_16StoreWithoutCastELi4ELi1EEEEEvT0_T1_@rel32@hi+12
	s_swappc_b64 s[30:31], s[4:5]
	s_endpgm
	.section	.rodata,"a",@progbits
	.p2align	6, 0x0
	.amdhsa_kernel _ZN2at6native29vectorized_elementwise_kernelILi8EZZZNS0_12_GLOBAL__N_130modified_bessel_k0_kernel_cudaERNS_18TensorIteratorBaseEENKUlvE_clEvENKUlvE_clEvEUldE_St5arrayIPcLm2EEEEviT0_T1_
		.amdhsa_group_segment_fixed_size 0
		.amdhsa_private_segment_fixed_size 0
		.amdhsa_kernarg_size 24
		.amdhsa_user_sgpr_count 8
		.amdhsa_user_sgpr_private_segment_buffer 1
		.amdhsa_user_sgpr_dispatch_ptr 0
		.amdhsa_user_sgpr_queue_ptr 0
		.amdhsa_user_sgpr_kernarg_segment_ptr 1
		.amdhsa_user_sgpr_dispatch_id 0
		.amdhsa_user_sgpr_flat_scratch_init 1
		.amdhsa_user_sgpr_kernarg_preload_length 0
		.amdhsa_user_sgpr_kernarg_preload_offset 0
		.amdhsa_user_sgpr_private_segment_size 0
		.amdhsa_uses_dynamic_stack 0
		.amdhsa_system_sgpr_private_segment_wavefront_offset 0
		.amdhsa_system_sgpr_workgroup_id_x 1
		.amdhsa_system_sgpr_workgroup_id_y 0
		.amdhsa_system_sgpr_workgroup_id_z 0
		.amdhsa_system_sgpr_workgroup_info 0
		.amdhsa_system_vgpr_workitem_id 0
		.amdhsa_next_free_vgpr 38
		.amdhsa_next_free_sgpr 33
		.amdhsa_accum_offset 40
		.amdhsa_reserve_vcc 1
		.amdhsa_reserve_flat_scratch 1
		.amdhsa_float_round_mode_32 0
		.amdhsa_float_round_mode_16_64 0
		.amdhsa_float_denorm_mode_32 3
		.amdhsa_float_denorm_mode_16_64 3
		.amdhsa_dx10_clamp 1
		.amdhsa_ieee_mode 1
		.amdhsa_fp16_overflow 0
		.amdhsa_tg_split 0
		.amdhsa_exception_fp_ieee_invalid_op 0
		.amdhsa_exception_fp_denorm_src 0
		.amdhsa_exception_fp_ieee_div_zero 0
		.amdhsa_exception_fp_ieee_overflow 0
		.amdhsa_exception_fp_ieee_underflow 0
		.amdhsa_exception_fp_ieee_inexact 0
		.amdhsa_exception_int_div_zero 0
	.end_amdhsa_kernel
	.section	.text._ZN2at6native29vectorized_elementwise_kernelILi8EZZZNS0_12_GLOBAL__N_130modified_bessel_k0_kernel_cudaERNS_18TensorIteratorBaseEENKUlvE_clEvENKUlvE_clEvEUldE_St5arrayIPcLm2EEEEviT0_T1_,"axG",@progbits,_ZN2at6native29vectorized_elementwise_kernelILi8EZZZNS0_12_GLOBAL__N_130modified_bessel_k0_kernel_cudaERNS_18TensorIteratorBaseEENKUlvE_clEvENKUlvE_clEvEUldE_St5arrayIPcLm2EEEEviT0_T1_,comdat
.Lfunc_end3:
	.size	_ZN2at6native29vectorized_elementwise_kernelILi8EZZZNS0_12_GLOBAL__N_130modified_bessel_k0_kernel_cudaERNS_18TensorIteratorBaseEENKUlvE_clEvENKUlvE_clEvEUldE_St5arrayIPcLm2EEEEviT0_T1_, .Lfunc_end3-_ZN2at6native29vectorized_elementwise_kernelILi8EZZZNS0_12_GLOBAL__N_130modified_bessel_k0_kernel_cudaERNS_18TensorIteratorBaseEENKUlvE_clEvENKUlvE_clEvEUldE_St5arrayIPcLm2EEEEviT0_T1_
                                        ; -- End function
	.section	.AMDGPU.csdata,"",@progbits
; Kernel info:
; codeLenInByte = 188
; NumSgprs: 39
; NumVgprs: 38
; NumAgprs: 0
; TotalNumVgprs: 38
; ScratchSize: 0
; MemoryBound: 0
; FloatMode: 240
; IeeeMode: 1
; LDSByteSize: 0 bytes/workgroup (compile time only)
; SGPRBlocks: 4
; VGPRBlocks: 4
; NumSGPRsForWavesPerEU: 39
; NumVGPRsForWavesPerEU: 38
; AccumOffset: 40
; Occupancy: 8
; WaveLimiterHint : 0
; COMPUTE_PGM_RSRC2:SCRATCH_EN: 0
; COMPUTE_PGM_RSRC2:USER_SGPR: 8
; COMPUTE_PGM_RSRC2:TRAP_HANDLER: 0
; COMPUTE_PGM_RSRC2:TGID_X_EN: 1
; COMPUTE_PGM_RSRC2:TGID_Y_EN: 0
; COMPUTE_PGM_RSRC2:TGID_Z_EN: 0
; COMPUTE_PGM_RSRC2:TIDIG_COMP_CNT: 0
; COMPUTE_PGM_RSRC3_GFX90A:ACCUM_OFFSET: 9
; COMPUTE_PGM_RSRC3_GFX90A:TG_SPLIT: 0
	.section	.text._ZN2at6native29vectorized_elementwise_kernelILi4EZZZNS0_12_GLOBAL__N_130modified_bessel_k0_kernel_cudaERNS_18TensorIteratorBaseEENKUlvE_clEvENKUlvE_clEvEUldE_St5arrayIPcLm2EEEEviT0_T1_,"axG",@progbits,_ZN2at6native29vectorized_elementwise_kernelILi4EZZZNS0_12_GLOBAL__N_130modified_bessel_k0_kernel_cudaERNS_18TensorIteratorBaseEENKUlvE_clEvENKUlvE_clEvEUldE_St5arrayIPcLm2EEEEviT0_T1_,comdat
	.globl	_ZN2at6native29vectorized_elementwise_kernelILi4EZZZNS0_12_GLOBAL__N_130modified_bessel_k0_kernel_cudaERNS_18TensorIteratorBaseEENKUlvE_clEvENKUlvE_clEvEUldE_St5arrayIPcLm2EEEEviT0_T1_ ; -- Begin function _ZN2at6native29vectorized_elementwise_kernelILi4EZZZNS0_12_GLOBAL__N_130modified_bessel_k0_kernel_cudaERNS_18TensorIteratorBaseEENKUlvE_clEvENKUlvE_clEvEUldE_St5arrayIPcLm2EEEEviT0_T1_
	.p2align	8
	.type	_ZN2at6native29vectorized_elementwise_kernelILi4EZZZNS0_12_GLOBAL__N_130modified_bessel_k0_kernel_cudaERNS_18TensorIteratorBaseEENKUlvE_clEvENKUlvE_clEvEUldE_St5arrayIPcLm2EEEEviT0_T1_,@function
_ZN2at6native29vectorized_elementwise_kernelILi4EZZZNS0_12_GLOBAL__N_130modified_bessel_k0_kernel_cudaERNS_18TensorIteratorBaseEENKUlvE_clEvENKUlvE_clEvEUldE_St5arrayIPcLm2EEEEviT0_T1_: ; @_ZN2at6native29vectorized_elementwise_kernelILi4EZZZNS0_12_GLOBAL__N_130modified_bessel_k0_kernel_cudaERNS_18TensorIteratorBaseEENKUlvE_clEvENKUlvE_clEvEUldE_St5arrayIPcLm2EEEEviT0_T1_
; %bb.0:
	s_add_u32 flat_scratch_lo, s6, s9
	s_load_dword s6, s[4:5], 0x0
	s_load_dwordx4 s[20:23], s[4:5], 0x8
	s_addc_u32 flat_scratch_hi, s7, 0
	s_add_u32 s0, s0, s9
	s_addc_u32 s1, s1, 0
	s_lshl_b32 s4, s8, 10
	s_waitcnt lgkmcnt(0)
	s_sub_i32 s19, s6, s4
	s_mov_b32 s18, s8
	v_mov_b32_e32 v34, v0
	s_cmpk_gt_i32 s19, 0x3ff
	s_mov_b64 s[4:5], -1
	s_mov_b32 s32, 0
	s_cbranch_scc1 .LBB4_3
; %bb.1:
	s_andn2_b64 vcc, exec, s[4:5]
	s_cbranch_vccz .LBB4_4
.LBB4_2:
	s_endpgm
.LBB4_3:
	s_mov_b32 s12, s18
	v_mov_b32_e32 v31, v34
	v_mov_b32_e32 v0, s20
	;; [unrolled: 1-line block ×5, first 2 shown]
	s_getpc_b64 s[4:5]
	s_add_u32 s4, s4, _ZN2at6native25elementwise_kernel_helperILb0EZZZNS0_12_GLOBAL__N_130modified_bessel_k0_kernel_cudaERNS_18TensorIteratorBaseEENKUlvE_clEvENKUlvE_clEvEUldE_NS0_6memory8policies10vectorizedILi4ESt5arrayIPcLm2EELi4EEEEEvT0_T1_@rel32@lo+4
	s_addc_u32 s5, s5, _ZN2at6native25elementwise_kernel_helperILb0EZZZNS0_12_GLOBAL__N_130modified_bessel_k0_kernel_cudaERNS_18TensorIteratorBaseEENKUlvE_clEvENKUlvE_clEvEUldE_NS0_6memory8policies10vectorizedILi4ESt5arrayIPcLm2EELi4EEEEEvT0_T1_@rel32@hi+12
	s_swappc_b64 s[30:31], s[4:5]
	s_cbranch_execnz .LBB4_2
.LBB4_4:
	s_mov_b32 s12, s18
	v_mov_b32_e32 v31, v34
	v_mov_b32_e32 v0, s20
	;; [unrolled: 1-line block ×6, first 2 shown]
	s_getpc_b64 s[4:5]
	s_add_u32 s4, s4, _ZN2at6native25elementwise_kernel_helperILb0EZZZNS0_12_GLOBAL__N_130modified_bessel_k0_kernel_cudaERNS_18TensorIteratorBaseEENKUlvE_clEvENKUlvE_clEvEUldE_NS0_6memory8policies11unroll_baseILi256ESt5arrayIPcLm2EE23TrivialOffsetCalculatorILi1EjESF_NS8_15LoadWithoutCastENS8_16StoreWithoutCastELi4ELi1EEEEEvT0_T1_@rel32@lo+4
	s_addc_u32 s5, s5, _ZN2at6native25elementwise_kernel_helperILb0EZZZNS0_12_GLOBAL__N_130modified_bessel_k0_kernel_cudaERNS_18TensorIteratorBaseEENKUlvE_clEvENKUlvE_clEvEUldE_NS0_6memory8policies11unroll_baseILi256ESt5arrayIPcLm2EE23TrivialOffsetCalculatorILi1EjESF_NS8_15LoadWithoutCastENS8_16StoreWithoutCastELi4ELi1EEEEEvT0_T1_@rel32@hi+12
	s_swappc_b64 s[30:31], s[4:5]
	s_endpgm
	.section	.rodata,"a",@progbits
	.p2align	6, 0x0
	.amdhsa_kernel _ZN2at6native29vectorized_elementwise_kernelILi4EZZZNS0_12_GLOBAL__N_130modified_bessel_k0_kernel_cudaERNS_18TensorIteratorBaseEENKUlvE_clEvENKUlvE_clEvEUldE_St5arrayIPcLm2EEEEviT0_T1_
		.amdhsa_group_segment_fixed_size 0
		.amdhsa_private_segment_fixed_size 0
		.amdhsa_kernarg_size 24
		.amdhsa_user_sgpr_count 8
		.amdhsa_user_sgpr_private_segment_buffer 1
		.amdhsa_user_sgpr_dispatch_ptr 0
		.amdhsa_user_sgpr_queue_ptr 0
		.amdhsa_user_sgpr_kernarg_segment_ptr 1
		.amdhsa_user_sgpr_dispatch_id 0
		.amdhsa_user_sgpr_flat_scratch_init 1
		.amdhsa_user_sgpr_kernarg_preload_length 0
		.amdhsa_user_sgpr_kernarg_preload_offset 0
		.amdhsa_user_sgpr_private_segment_size 0
		.amdhsa_uses_dynamic_stack 0
		.amdhsa_system_sgpr_private_segment_wavefront_offset 0
		.amdhsa_system_sgpr_workgroup_id_x 1
		.amdhsa_system_sgpr_workgroup_id_y 0
		.amdhsa_system_sgpr_workgroup_id_z 0
		.amdhsa_system_sgpr_workgroup_info 0
		.amdhsa_system_vgpr_workitem_id 0
		.amdhsa_next_free_vgpr 38
		.amdhsa_next_free_sgpr 33
		.amdhsa_accum_offset 40
		.amdhsa_reserve_vcc 1
		.amdhsa_reserve_flat_scratch 1
		.amdhsa_float_round_mode_32 0
		.amdhsa_float_round_mode_16_64 0
		.amdhsa_float_denorm_mode_32 3
		.amdhsa_float_denorm_mode_16_64 3
		.amdhsa_dx10_clamp 1
		.amdhsa_ieee_mode 1
		.amdhsa_fp16_overflow 0
		.amdhsa_tg_split 0
		.amdhsa_exception_fp_ieee_invalid_op 0
		.amdhsa_exception_fp_denorm_src 0
		.amdhsa_exception_fp_ieee_div_zero 0
		.amdhsa_exception_fp_ieee_overflow 0
		.amdhsa_exception_fp_ieee_underflow 0
		.amdhsa_exception_fp_ieee_inexact 0
		.amdhsa_exception_int_div_zero 0
	.end_amdhsa_kernel
	.section	.text._ZN2at6native29vectorized_elementwise_kernelILi4EZZZNS0_12_GLOBAL__N_130modified_bessel_k0_kernel_cudaERNS_18TensorIteratorBaseEENKUlvE_clEvENKUlvE_clEvEUldE_St5arrayIPcLm2EEEEviT0_T1_,"axG",@progbits,_ZN2at6native29vectorized_elementwise_kernelILi4EZZZNS0_12_GLOBAL__N_130modified_bessel_k0_kernel_cudaERNS_18TensorIteratorBaseEENKUlvE_clEvENKUlvE_clEvEUldE_St5arrayIPcLm2EEEEviT0_T1_,comdat
.Lfunc_end4:
	.size	_ZN2at6native29vectorized_elementwise_kernelILi4EZZZNS0_12_GLOBAL__N_130modified_bessel_k0_kernel_cudaERNS_18TensorIteratorBaseEENKUlvE_clEvENKUlvE_clEvEUldE_St5arrayIPcLm2EEEEviT0_T1_, .Lfunc_end4-_ZN2at6native29vectorized_elementwise_kernelILi4EZZZNS0_12_GLOBAL__N_130modified_bessel_k0_kernel_cudaERNS_18TensorIteratorBaseEENKUlvE_clEvENKUlvE_clEvEUldE_St5arrayIPcLm2EEEEviT0_T1_
                                        ; -- End function
	.section	.AMDGPU.csdata,"",@progbits
; Kernel info:
; codeLenInByte = 188
; NumSgprs: 39
; NumVgprs: 38
; NumAgprs: 0
; TotalNumVgprs: 38
; ScratchSize: 0
; MemoryBound: 0
; FloatMode: 240
; IeeeMode: 1
; LDSByteSize: 0 bytes/workgroup (compile time only)
; SGPRBlocks: 4
; VGPRBlocks: 4
; NumSGPRsForWavesPerEU: 39
; NumVGPRsForWavesPerEU: 38
; AccumOffset: 40
; Occupancy: 8
; WaveLimiterHint : 0
; COMPUTE_PGM_RSRC2:SCRATCH_EN: 0
; COMPUTE_PGM_RSRC2:USER_SGPR: 8
; COMPUTE_PGM_RSRC2:TRAP_HANDLER: 0
; COMPUTE_PGM_RSRC2:TGID_X_EN: 1
; COMPUTE_PGM_RSRC2:TGID_Y_EN: 0
; COMPUTE_PGM_RSRC2:TGID_Z_EN: 0
; COMPUTE_PGM_RSRC2:TIDIG_COMP_CNT: 0
; COMPUTE_PGM_RSRC3_GFX90A:ACCUM_OFFSET: 9
; COMPUTE_PGM_RSRC3_GFX90A:TG_SPLIT: 0
	.section	.text._ZN2at6native29vectorized_elementwise_kernelILi2EZZZNS0_12_GLOBAL__N_130modified_bessel_k0_kernel_cudaERNS_18TensorIteratorBaseEENKUlvE_clEvENKUlvE_clEvEUldE_St5arrayIPcLm2EEEEviT0_T1_,"axG",@progbits,_ZN2at6native29vectorized_elementwise_kernelILi2EZZZNS0_12_GLOBAL__N_130modified_bessel_k0_kernel_cudaERNS_18TensorIteratorBaseEENKUlvE_clEvENKUlvE_clEvEUldE_St5arrayIPcLm2EEEEviT0_T1_,comdat
	.globl	_ZN2at6native29vectorized_elementwise_kernelILi2EZZZNS0_12_GLOBAL__N_130modified_bessel_k0_kernel_cudaERNS_18TensorIteratorBaseEENKUlvE_clEvENKUlvE_clEvEUldE_St5arrayIPcLm2EEEEviT0_T1_ ; -- Begin function _ZN2at6native29vectorized_elementwise_kernelILi2EZZZNS0_12_GLOBAL__N_130modified_bessel_k0_kernel_cudaERNS_18TensorIteratorBaseEENKUlvE_clEvENKUlvE_clEvEUldE_St5arrayIPcLm2EEEEviT0_T1_
	.p2align	8
	.type	_ZN2at6native29vectorized_elementwise_kernelILi2EZZZNS0_12_GLOBAL__N_130modified_bessel_k0_kernel_cudaERNS_18TensorIteratorBaseEENKUlvE_clEvENKUlvE_clEvEUldE_St5arrayIPcLm2EEEEviT0_T1_,@function
_ZN2at6native29vectorized_elementwise_kernelILi2EZZZNS0_12_GLOBAL__N_130modified_bessel_k0_kernel_cudaERNS_18TensorIteratorBaseEENKUlvE_clEvENKUlvE_clEvEUldE_St5arrayIPcLm2EEEEviT0_T1_: ; @_ZN2at6native29vectorized_elementwise_kernelILi2EZZZNS0_12_GLOBAL__N_130modified_bessel_k0_kernel_cudaERNS_18TensorIteratorBaseEENKUlvE_clEvENKUlvE_clEvEUldE_St5arrayIPcLm2EEEEviT0_T1_
; %bb.0:
	s_add_u32 flat_scratch_lo, s6, s9
	s_load_dword s6, s[4:5], 0x0
	s_load_dwordx4 s[16:19], s[4:5], 0x8
	s_addc_u32 flat_scratch_hi, s7, 0
	s_add_u32 s0, s0, s9
	s_addc_u32 s1, s1, 0
	s_lshl_b32 s4, s8, 10
	s_waitcnt lgkmcnt(0)
	s_sub_i32 s9, s6, s4
	s_cmpk_gt_i32 s9, 0x3ff
	s_mov_b64 s[6:7], -1
	s_mov_b32 s32, 0
	s_cbranch_scc1 .LBB5_3
; %bb.1:
	s_and_b64 vcc, exec, s[6:7]
	s_cbranch_vccnz .LBB5_52
.LBB5_2:
	s_endpgm
.LBB5_3:
	s_ashr_i32 s5, s4, 31
	s_lshl_b64 s[4:5], s[4:5], 3
	s_add_u32 s6, s18, s4
	s_addc_u32 s7, s19, s5
	v_lshlrev_b32_e32 v1, 4, v0
	v_mov_b32_e32 v2, s7
	v_add_co_u32_e32 v3, vcc, s6, v1
	v_addc_co_u32_e32 v4, vcc, 0, v2, vcc
	v_add_co_u32_e32 v2, vcc, 0x1000, v3
	global_load_dwordx4 v[10:13], v1, s[6:7]
	v_addc_co_u32_e32 v3, vcc, 0, v4, vcc
	global_load_dwordx4 v[6:9], v[2:3], off
	v_mov_b32_e32 v4, 0
	v_mov_b32_e32 v5, 0x7ff00000
	v_pk_mov_b32 v[2:3], v[4:5], v[4:5] op_sel:[0,1]
	s_waitcnt vmcnt(1)
	v_cmp_neq_f64_e32 vcc, 0, v[10:11]
	s_and_saveexec_b64 s[6:7], vcc
	s_cbranch_execz .LBB5_15
; %bb.4:
	v_mov_b32_e32 v2, 0
	v_cmp_ngt_f64_e32 vcc, 0, v[10:11]
	v_mov_b32_e32 v3, 0x7ff80000
	s_and_saveexec_b64 s[10:11], vcc
	s_cbranch_execz .LBB5_14
; %bb.5:
	v_cmp_ge_f64_e32 vcc, 2.0, v[10:11]
	s_and_saveexec_b64 s[12:13], vcc
	s_xor_b64 s[12:13], exec, s[12:13]
	s_cbranch_execz .LBB5_11
; %bb.6:
	s_mov_b32 s14, 0
	s_mov_b32 s15, 0x40200000
	v_mul_f64 v[2:3], v[10:11], 0.5
	v_cmp_ge_f64_e32 vcc, s[14:15], v[10:11]
                                        ; implicit-def: $vgpr14_vgpr15
	s_and_saveexec_b64 s[14:15], vcc
	s_xor_b64 s[14:15], exec, s[14:15]
	s_cbranch_execz .LBB5_8
; %bb.7:
	s_mov_b32 s20, 0x2134d0ef
	v_add_f64 v[14:15], v[2:3], -2.0
	v_mov_b32_e32 v16, 0x977da589
	v_mov_b32_e32 v17, 0x3c833362
	s_mov_b32 s21, 0xbc545cb7
	v_fmac_f64_e32 v[16:17], s[20:21], v[14:15]
	v_mov_b32_e32 v18, 0x2134d0ef
	v_mov_b32_e32 v19, 0x3c545cb7
	s_mov_b32 s20, 0x721ebbb4
	v_fmac_f64_e32 v[18:19], v[14:15], v[16:17]
	s_mov_b32 s21, 0xbcb184eb
	v_add_f64 v[18:19], v[18:19], s[20:21]
	s_mov_b32 s20, 0x93f65eba
	v_fma_f64 v[16:17], v[14:15], v[18:19], -v[16:17]
	s_mov_b32 s21, 0x3cdee6d8
	v_add_f64 v[16:17], v[16:17], s[20:21]
	s_mov_b32 s20, 0xc297fbeb
	v_fma_f64 v[18:19], v[14:15], v[16:17], -v[18:19]
	;; [unrolled: 4-line block ×27, first 2 shown]
	s_mov_b32 s21, 0x3fe5a84e
	v_add_f64 v[14:15], v[14:15], s[20:21]
	s_mov_b32 s20, 0x652b82fe
	s_mov_b32 s21, 0x3ff71547
	v_mul_f64 v[18:19], v[10:11], s[20:21]
	s_mov_b32 s20, 0xfefa39ef
	v_rndne_f64_e32 v[18:19], v[18:19]
	s_mov_b32 s21, 0xbfe62e42
	v_fma_f64 v[20:21], s[20:21], v[18:19], v[10:11]
	s_mov_b32 s20, 0x3b39803f
	s_mov_b32 s21, 0xbc7abc9e
	v_fmac_f64_e32 v[20:21], s[20:21], v[18:19]
	s_mov_b32 s20, 0x6a5dcb37
	v_mov_b32_e32 v22, 0xfca7ab0c
	v_mov_b32_e32 v23, 0x3e928af3
	s_mov_b32 s21, 0x3e5ade15
	v_fmac_f64_e32 v[22:23], s[20:21], v[20:21]
	v_mov_b32_e32 v24, 0x623fde64
	v_mov_b32_e32 v25, 0x3ec71dee
	v_fmac_f64_e32 v[24:25], v[20:21], v[22:23]
	v_mov_b32_e32 v22, 0x7c89e6b0
	v_mov_b32_e32 v23, 0x3efa0199
	;; [unrolled: 3-line block ×8, first 2 shown]
	v_fmac_f64_e32 v[22:23], v[20:21], v[24:25]
	v_fma_f64 v[22:23], v[20:21], v[22:23], 1.0
	s_mov_b32 s20, 0
	v_fma_f64 v[20:21], v[20:21], v[22:23], 1.0
	v_cvt_i32_f64_e32 v18, v[18:19]
	s_mov_b32 s21, 0x40900000
	v_ldexp_f64 v[18:19], v[20:21], v18
	v_mov_b32_e32 v20, 0x7ff00000
	v_cmp_nlt_f64_e32 vcc, s[20:21], v[10:11]
	v_add_f64 v[14:15], v[14:15], -v[16:17]
	v_cndmask_b32_e32 v19, v20, v19, vcc
	v_cndmask_b32_e32 v18, 0, v18, vcc
	v_mul_f64 v[14:15], v[14:15], 0.5
	v_mul_f64 v[14:15], v[18:19], v[14:15]
.LBB5_8:
	s_andn2_saveexec_b64 s[14:15], s[14:15]
	s_cbranch_execz .LBB5_10
; %bb.9:
	s_mov_b32 s20, 0
	s_mov_b32 s21, 0x40400000
	v_div_scale_f64 v[14:15], s[22:23], v[10:11], v[10:11], s[20:21]
	v_rcp_f64_e32 v[16:17], v[14:15]
	v_mov_b32_e32 v22, 0xfca7ab0c
	v_mov_b32_e32 v23, 0x3e928af3
	;; [unrolled: 1-line block ×3, first 2 shown]
	v_fma_f64 v[18:19], -v[14:15], v[16:17], 1.0
	v_fmac_f64_e32 v[16:17], v[16:17], v[18:19]
	v_fma_f64 v[18:19], -v[14:15], v[16:17], 1.0
	v_fmac_f64_e32 v[16:17], v[16:17], v[18:19]
	v_div_scale_f64 v[18:19], vcc, s[20:21], v[10:11], s[20:21]
	v_mul_f64 v[20:21], v[18:19], v[16:17]
	v_fma_f64 v[14:15], -v[14:15], v[20:21], v[18:19]
	v_mov_b32_e32 v18, 0x54ca8b19
	s_nop 0
	v_div_fmas_f64 v[14:15], v[14:15], v[16:17], v[20:21]
	v_div_fixup_f64 v[14:15], v[14:15], v[10:11], s[20:21]
	s_mov_b32 s20, 0x54ca8b19
	v_add_f64 v[14:15], v[14:15], -2.0
	v_mov_b32_e32 v16, 0x66119130
	v_mov_b32_e32 v17, 0xbc5646da
	s_mov_b32 s21, 0xbc60adb7
	v_fmac_f64_e32 v[16:17], s[20:21], v[14:15]
	v_mov_b32_e32 v19, 0x3c60adb7
	s_mov_b32 s20, 0x12d98421
	v_fmac_f64_e32 v[18:19], v[14:15], v[16:17]
	s_mov_b32 s21, 0x3c89be18
	v_add_f64 v[18:19], v[18:19], s[20:21]
	s_mov_b32 s20, 0x76041cd
	v_fma_f64 v[16:17], v[14:15], v[18:19], -v[16:17]
	s_mov_b32 s21, 0x3c83f3dd
	v_add_f64 v[16:17], v[16:17], s[20:21]
	s_mov_b32 s20, 0xabd21fe4
	v_fma_f64 v[18:19], v[14:15], v[16:17], -v[18:19]
	;; [unrolled: 4-line block ×22, first 2 shown]
	s_mov_b32 s21, 0x3fe9be62
	v_add_f64 v[14:15], v[14:15], s[20:21]
	s_mov_b32 s20, 0x652b82fe
	s_mov_b32 s21, 0x3ff71547
	v_mul_f64 v[16:17], v[10:11], s[20:21]
	s_mov_b32 s20, 0xfefa39ef
	v_rndne_f64_e32 v[16:17], v[16:17]
	s_mov_b32 s21, 0xbfe62e42
	v_fma_f64 v[20:21], s[20:21], v[16:17], v[10:11]
	s_mov_b32 s20, 0x3b39803f
	s_mov_b32 s21, 0xbc7abc9e
	v_fmac_f64_e32 v[20:21], s[20:21], v[16:17]
	s_mov_b32 s20, 0x6a5dcb37
	s_mov_b32 s21, 0x3e5ade15
	v_fmac_f64_e32 v[22:23], s[20:21], v[20:21]
	v_mov_b32_e32 v25, 0x3ec71dee
	v_fmac_f64_e32 v[24:25], v[20:21], v[22:23]
	v_mov_b32_e32 v22, 0x7c89e6b0
	v_mov_b32_e32 v23, 0x3efa0199
	v_fmac_f64_e32 v[22:23], v[20:21], v[24:25]
	v_mov_b32_e32 v24, 0x14761f6e
	;; [unrolled: 3-line block ×7, first 2 shown]
	v_mov_b32_e32 v23, 0x3fe00000
	v_fmac_f64_e32 v[22:23], v[20:21], v[24:25]
	s_mov_b32 s20, 0
	v_fma_f64 v[22:23], v[20:21], v[22:23], 1.0
	s_mov_b32 s21, 0x40900000
	v_fma_f64 v[20:21], v[20:21], v[22:23], 1.0
	v_cvt_i32_f64_e32 v16, v[16:17]
	v_cmp_nlt_f64_e32 vcc, s[20:21], v[10:11]
	s_mov_b32 s20, 0
	v_ldexp_f64 v[16:17], v[20:21], v16
	v_mov_b32_e32 v20, 0x7ff00000
	s_brev_b32 s21, 8
	v_cndmask_b32_e32 v17, v20, v17, vcc
	v_cndmask_b32_e32 v16, 0, v16, vcc
	v_cmp_gt_f64_e32 vcc, s[20:21], v[10:11]
	v_cndmask_b32_e64 v20, 0, 1, vcc
	v_lshlrev_b32_e32 v20, 8, v20
	v_ldexp_f64 v[20:21], v[10:11], v20
	v_rsq_f64_e32 v[22:23], v[20:21]
	v_add_f64 v[14:15], v[14:15], -v[18:19]
	v_mul_f64 v[14:15], v[14:15], 0.5
	v_mul_f64 v[14:15], v[16:17], v[14:15]
	v_mul_f64 v[16:17], v[20:21], v[22:23]
	v_mul_f64 v[18:19], v[22:23], 0.5
	v_fma_f64 v[22:23], -v[18:19], v[16:17], 0.5
	v_fmac_f64_e32 v[16:17], v[16:17], v[22:23]
	v_fma_f64 v[24:25], -v[16:17], v[16:17], v[20:21]
	v_fmac_f64_e32 v[18:19], v[18:19], v[22:23]
	v_fmac_f64_e32 v[16:17], v[24:25], v[18:19]
	v_fma_f64 v[22:23], -v[16:17], v[16:17], v[20:21]
	v_fmac_f64_e32 v[16:17], v[22:23], v[18:19]
	v_mov_b32_e32 v18, 0xffffff80
	v_cndmask_b32_e32 v18, 0, v18, vcc
	v_ldexp_f64 v[16:17], v[16:17], v18
	v_mov_b32_e32 v18, 0x260
	v_cmp_class_f64_e32 vcc, v[20:21], v18
	v_cndmask_b32_e32 v17, v17, v21, vcc
	v_cndmask_b32_e32 v16, v16, v20, vcc
	v_div_scale_f64 v[18:19], s[20:21], v[16:17], v[16:17], v[14:15]
	v_rcp_f64_e32 v[20:21], v[18:19]
	v_fma_f64 v[22:23], -v[18:19], v[20:21], 1.0
	v_fmac_f64_e32 v[20:21], v[20:21], v[22:23]
	v_fma_f64 v[22:23], -v[18:19], v[20:21], 1.0
	v_fmac_f64_e32 v[20:21], v[20:21], v[22:23]
	v_div_scale_f64 v[22:23], vcc, v[14:15], v[16:17], v[14:15]
	v_mul_f64 v[24:25], v[22:23], v[20:21]
	v_fma_f64 v[18:19], -v[18:19], v[24:25], v[22:23]
	s_nop 1
	v_div_fmas_f64 v[18:19], v[18:19], v[20:21], v[24:25]
	v_div_fixup_f64 v[14:15], v[18:19], v[16:17], v[14:15]
.LBB5_10:
	s_or_b64 exec, exec, s[14:15]
	s_mov_b32 s14, 0xe6a7fd77
	v_fma_f64 v[10:11], v[10:11], v[10:11], -2.0
	v_mov_b32_e32 v16, 0xc384c2aa
	v_mov_b32_e32 v17, 0x3d27fb0a
	s_mov_b32 s15, 0x3ca3cee1
	v_fmac_f64_e32 v[16:17], s[14:15], v[10:11]
	v_mov_b32_e32 v18, 0xe6a7fd77
	v_mov_b32_e32 v19, 0xbca3cee1
	s_mov_b32 s14, 0x47512144
	v_fmac_f64_e32 v[18:19], v[10:11], v[16:17]
	s_mov_b32 s15, 0x3da6c25c
	v_add_f64 v[18:19], v[18:19], s[14:15]
	s_mov_b32 s14, 0x67e58a13
	v_fma_f64 v[16:17], v[10:11], v[18:19], -v[16:17]
	s_mov_b32 s15, 0x3e205c13
	v_add_f64 v[16:17], v[16:17], s[14:15]
	s_mov_b32 s14, 0xe7f95efc
	v_fma_f64 v[18:19], v[10:11], v[16:17], -v[18:19]
	;; [unrolled: 4-line block ×7, first 2 shown]
	s_mov_b32 s15, 0xbfe12166
	v_add_f64 v[10:11], v[10:11], s[14:15]
	s_mov_b32 s14, 0x55555555
	v_add_f64 v[10:11], v[10:11], -v[16:17]
	v_frexp_mant_f64_e32 v[16:17], v[2:3]
	s_mov_b32 s15, 0x3fe55555
	v_mov_b32_e32 v18, 0x3ff00000
	v_cmp_gt_f64_e32 vcc, s[14:15], v[16:17]
	v_cndmask_b32_e64 v19, v18, 2.0, vcc
	v_mov_b32_e32 v18, 0
	v_mul_f64 v[16:17], v[16:17], v[18:19]
	v_frexp_exp_i32_f64_e32 v20, v[2:3]
	v_add_f64 v[18:19], v[16:17], 1.0
	v_subbrev_co_u32_e32 v30, vcc, 0, v20, vcc
	v_rcp_f64_e32 v[20:21], v[18:19]
	v_add_f64 v[24:25], v[18:19], -1.0
	v_add_f64 v[22:23], v[16:17], -1.0
	v_add_f64 v[16:17], v[16:17], -v[24:25]
	v_fma_f64 v[24:25], -v[18:19], v[20:21], 1.0
	v_fmac_f64_e32 v[20:21], v[24:25], v[20:21]
	v_fma_f64 v[24:25], -v[18:19], v[20:21], 1.0
	v_fmac_f64_e32 v[20:21], v[24:25], v[20:21]
	v_mul_f64 v[24:25], v[22:23], v[20:21]
	v_mul_f64 v[26:27], v[18:19], v[24:25]
	v_fma_f64 v[18:19], v[24:25], v[18:19], -v[26:27]
	v_fmac_f64_e32 v[18:19], v[24:25], v[16:17]
	v_add_f64 v[16:17], v[26:27], v[18:19]
	v_add_f64 v[28:29], v[22:23], -v[16:17]
	v_add_f64 v[26:27], v[16:17], -v[26:27]
	;; [unrolled: 1-line block ×5, first 2 shown]
	v_add_f64 v[16:17], v[18:19], v[16:17]
	v_add_f64 v[16:17], v[28:29], v[16:17]
	v_mul_f64 v[16:17], v[20:21], v[16:17]
	v_add_f64 v[18:19], v[24:25], v[16:17]
	v_add_f64 v[20:21], v[18:19], -v[24:25]
	s_mov_b32 s14, 0xbf559e2b
	v_add_f64 v[16:17], v[16:17], -v[20:21]
	v_mul_f64 v[20:21], v[18:19], v[18:19]
	v_mov_b32_e32 v22, 0x6b47b09a
	v_mov_b32_e32 v23, 0x3fc38538
	s_mov_b32 s15, 0x3fc3ab76
	v_fmac_f64_e32 v[22:23], s[14:15], v[20:21]
	v_mov_b32_e32 v24, 0xd7f4df2e
	v_mov_b32_e32 v25, 0x3fc7474d
	v_fmac_f64_e32 v[24:25], v[20:21], v[22:23]
	v_mov_b32_e32 v22, 0x16291751
	v_mov_b32_e32 v23, 0x3fcc71c0
	;; [unrolled: 3-line block ×5, first 2 shown]
	v_fmac_f64_e32 v[24:25], v[20:21], v[22:23]
	v_ldexp_f64 v[22:23], v[18:19], 1
	v_mul_f64 v[18:19], v[18:19], v[20:21]
	v_mul_f64 v[18:19], v[18:19], v[24:25]
	v_add_f64 v[20:21], v[22:23], v[18:19]
	v_add_f64 v[22:23], v[20:21], -v[22:23]
	v_ldexp_f64 v[16:17], v[16:17], 1
	v_add_f64 v[18:19], v[18:19], -v[22:23]
	v_add_f64 v[16:17], v[16:17], v[18:19]
	v_add_f64 v[18:19], v[20:21], v[16:17]
	v_add_f64 v[20:21], v[18:19], -v[20:21]
	s_mov_b32 s14, 0xfefa39ef
	v_add_f64 v[16:17], v[16:17], -v[20:21]
	v_cvt_f64_i32_e32 v[20:21], v30
	s_mov_b32 s15, 0x3fe62e42
	v_mul_f64 v[22:23], v[20:21], s[14:15]
	v_fma_f64 v[24:25], v[20:21], s[14:15], -v[22:23]
	s_mov_b32 s14, 0x3b39803f
	s_mov_b32 s15, 0x3c7abc9e
	v_fmac_f64_e32 v[24:25], s[14:15], v[20:21]
	v_add_f64 v[20:21], v[22:23], v[24:25]
	v_add_f64 v[22:23], v[20:21], -v[22:23]
	v_add_f64 v[22:23], v[24:25], -v[22:23]
	v_add_f64 v[24:25], v[20:21], v[18:19]
	v_add_f64 v[26:27], v[24:25], -v[20:21]
	v_add_f64 v[28:29], v[24:25], -v[26:27]
	;; [unrolled: 1-line block ×4, first 2 shown]
	v_add_f64 v[18:19], v[18:19], v[20:21]
	v_add_f64 v[20:21], v[22:23], v[16:17]
	v_add_f64 v[26:27], v[20:21], -v[22:23]
	v_add_f64 v[28:29], v[20:21], -v[26:27]
	v_add_f64 v[18:19], v[20:21], v[18:19]
	v_add_f64 v[22:23], v[22:23], -v[28:29]
	v_add_f64 v[16:17], v[16:17], -v[26:27]
	v_add_f64 v[20:21], v[24:25], v[18:19]
	v_add_f64 v[16:17], v[16:17], v[22:23]
	v_add_f64 v[22:23], v[20:21], -v[24:25]
	v_add_f64 v[18:19], v[18:19], -v[22:23]
	s_mov_b32 s14, 0
	v_add_f64 v[16:17], v[16:17], v[18:19]
	s_mov_b32 s15, 0x7ff00000
	v_add_f64 v[16:17], v[20:21], v[16:17]
	v_cmp_eq_f64_e32 vcc, s[14:15], v[2:3]
	v_cndmask_b32_e32 v16, v16, v2, vcc
	v_cndmask_b32_e32 v17, v17, v3, vcc
	v_mov_b32_e32 v18, 0xfff00000
	v_cmp_neq_f64_e32 vcc, 0, v[2:3]
	v_cndmask_b32_e32 v3, v18, v17, vcc
	v_cndmask_b32_e32 v2, 0, v16, vcc
	v_mul_f64 v[2:3], v[2:3], v[14:15]
	v_fma_f64 v[2:3], v[10:11], 0.5, -v[2:3]
.LBB5_11:
	s_andn2_saveexec_b64 s[12:13], s[12:13]
	s_cbranch_execz .LBB5_13
; %bb.12:
	s_mov_b32 s14, 0
	s_mov_b32 s15, 0x40200000
	v_div_scale_f64 v[2:3], s[20:21], v[10:11], v[10:11], s[14:15]
	v_rcp_f64_e32 v[14:15], v[2:3]
	v_mov_b32_e32 v20, 0xfca7ab0c
	v_mov_b32_e32 v21, 0x3e928af3
	v_mov_b32_e32 v22, 0x623fde64
	v_fma_f64 v[16:17], -v[2:3], v[14:15], 1.0
	v_fmac_f64_e32 v[14:15], v[14:15], v[16:17]
	v_fma_f64 v[16:17], -v[2:3], v[14:15], 1.0
	v_fmac_f64_e32 v[14:15], v[14:15], v[16:17]
	v_div_scale_f64 v[16:17], vcc, s[14:15], v[10:11], s[14:15]
	v_mul_f64 v[18:19], v[16:17], v[14:15]
	v_fma_f64 v[2:3], -v[2:3], v[18:19], v[16:17]
	v_mov_b32_e32 v16, 0xcf8c9ee1
	s_nop 0
	v_div_fmas_f64 v[2:3], v[2:3], v[14:15], v[18:19]
	v_div_fixup_f64 v[2:3], v[2:3], v[10:11], s[14:15]
	s_mov_b32 s14, 0xcf8c9ee1
	v_add_f64 v[2:3], v[2:3], -2.0
	v_mov_b32_e32 v14, 0x93812603
	v_mov_b32_e32 v15, 0xbc72fecc
	s_mov_b32 s15, 0x3c5871a5
	v_fmac_f64_e32 v[14:15], s[14:15], v[2:3]
	v_mov_b32_e32 v17, 0xbc5871a5
	s_mov_b32 s14, 0x41a8cdf4
	v_fmac_f64_e32 v[16:17], v[2:3], v[14:15]
	s_mov_b32 s15, 0x3c8e092e
	v_add_f64 v[16:17], v[16:17], s[14:15]
	s_mov_b32 s14, 0x74d77641
	v_fma_f64 v[14:15], v[2:3], v[16:17], -v[14:15]
	s_mov_b32 s15, 0xbca82f94
	v_add_f64 v[14:15], v[14:15], s[14:15]
	s_mov_b32 s14, 0x6b94785b
	v_fma_f64 v[16:17], v[2:3], v[14:15], -v[16:17]
	;; [unrolled: 4-line block ×22, first 2 shown]
	s_mov_b32 s15, 0x400385bd
	v_add_f64 v[2:3], v[2:3], s[14:15]
	s_mov_b32 s14, 0x652b82fe
	s_mov_b32 s15, 0xbff71547
	v_mul_f64 v[14:15], v[10:11], s[14:15]
	s_mov_b32 s14, 0xfefa39ef
	v_rndne_f64_e32 v[14:15], v[14:15]
	s_mov_b32 s15, 0xbfe62e42
	v_fma_f64 v[18:19], v[14:15], s[14:15], -v[10:11]
	s_mov_b32 s14, 0x3b39803f
	s_mov_b32 s15, 0xbc7abc9e
	v_fmac_f64_e32 v[18:19], s[14:15], v[14:15]
	s_mov_b32 s14, 0x6a5dcb37
	s_mov_b32 s15, 0x3e5ade15
	v_fmac_f64_e32 v[20:21], s[14:15], v[18:19]
	v_mov_b32_e32 v23, 0x3ec71dee
	v_fmac_f64_e32 v[22:23], v[18:19], v[20:21]
	v_mov_b32_e32 v20, 0x7c89e6b0
	v_mov_b32_e32 v21, 0x3efa0199
	v_fmac_f64_e32 v[20:21], v[18:19], v[22:23]
	v_mov_b32_e32 v22, 0x14761f6e
	;; [unrolled: 3-line block ×7, first 2 shown]
	v_mov_b32_e32 v21, 0x3fe00000
	v_fmac_f64_e32 v[20:21], v[18:19], v[22:23]
	s_mov_b32 s14, 0
	v_fma_f64 v[20:21], v[18:19], v[20:21], 1.0
	s_mov_b32 s15, 0x4090cc00
	v_fma_f64 v[18:19], v[18:19], v[20:21], 1.0
	v_cvt_i32_f64_e32 v14, v[14:15]
	v_cmp_nlt_f64_e32 vcc, s[14:15], v[10:11]
	s_mov_b32 s14, 0
	v_ldexp_f64 v[14:15], v[18:19], v14
	s_brev_b32 s15, 8
	v_cndmask_b32_e32 v15, 0, v15, vcc
	v_cndmask_b32_e32 v14, 0, v14, vcc
	v_cmp_gt_f64_e32 vcc, s[14:15], v[10:11]
	v_cndmask_b32_e64 v18, 0, 1, vcc
	v_lshlrev_b32_e32 v18, 8, v18
	v_ldexp_f64 v[10:11], v[10:11], v18
	v_rsq_f64_e32 v[18:19], v[10:11]
	v_add_f64 v[2:3], v[2:3], -v[16:17]
	v_mul_f64 v[2:3], v[2:3], 0.5
	v_mul_f64 v[2:3], v[14:15], v[2:3]
	v_mul_f64 v[14:15], v[10:11], v[18:19]
	v_mul_f64 v[16:17], v[18:19], 0.5
	v_fma_f64 v[18:19], -v[16:17], v[14:15], 0.5
	v_fmac_f64_e32 v[14:15], v[14:15], v[18:19]
	v_fma_f64 v[20:21], -v[14:15], v[14:15], v[10:11]
	v_fmac_f64_e32 v[16:17], v[16:17], v[18:19]
	v_fmac_f64_e32 v[14:15], v[20:21], v[16:17]
	v_fma_f64 v[18:19], -v[14:15], v[14:15], v[10:11]
	v_fmac_f64_e32 v[14:15], v[18:19], v[16:17]
	v_mov_b32_e32 v16, 0xffffff80
	v_cndmask_b32_e32 v16, 0, v16, vcc
	v_ldexp_f64 v[14:15], v[14:15], v16
	v_mov_b32_e32 v16, 0x260
	v_cmp_class_f64_e32 vcc, v[10:11], v16
	v_cndmask_b32_e32 v11, v15, v11, vcc
	v_cndmask_b32_e32 v10, v14, v10, vcc
	v_div_scale_f64 v[14:15], s[14:15], v[10:11], v[10:11], v[2:3]
	v_rcp_f64_e32 v[16:17], v[14:15]
	v_fma_f64 v[18:19], -v[14:15], v[16:17], 1.0
	v_fmac_f64_e32 v[16:17], v[16:17], v[18:19]
	v_fma_f64 v[18:19], -v[14:15], v[16:17], 1.0
	v_fmac_f64_e32 v[16:17], v[16:17], v[18:19]
	v_div_scale_f64 v[18:19], vcc, v[2:3], v[10:11], v[2:3]
	v_mul_f64 v[20:21], v[18:19], v[16:17]
	v_fma_f64 v[14:15], -v[14:15], v[20:21], v[18:19]
	s_nop 1
	v_div_fmas_f64 v[14:15], v[14:15], v[16:17], v[20:21]
	v_div_fixup_f64 v[2:3], v[14:15], v[10:11], v[2:3]
.LBB5_13:
	s_or_b64 exec, exec, s[12:13]
.LBB5_14:
	s_or_b64 exec, exec, s[10:11]
.LBB5_15:
	s_or_b64 exec, exec, s[6:7]
	v_cmp_neq_f64_e32 vcc, 0, v[12:13]
	s_and_saveexec_b64 s[6:7], vcc
	s_cbranch_execz .LBB5_27
; %bb.16:
	v_mov_b32_e32 v4, 0
	v_cmp_ngt_f64_e32 vcc, 0, v[12:13]
	v_mov_b32_e32 v5, 0x7ff80000
	s_and_saveexec_b64 s[10:11], vcc
	s_cbranch_execz .LBB5_26
; %bb.17:
	v_cmp_ge_f64_e32 vcc, 2.0, v[12:13]
	s_and_saveexec_b64 s[12:13], vcc
	s_xor_b64 s[12:13], exec, s[12:13]
	s_cbranch_execz .LBB5_23
; %bb.18:
	s_mov_b32 s14, 0
	s_mov_b32 s15, 0x40200000
	v_mul_f64 v[4:5], v[12:13], 0.5
	v_cmp_ge_f64_e32 vcc, s[14:15], v[12:13]
                                        ; implicit-def: $vgpr10_vgpr11
	s_and_saveexec_b64 s[14:15], vcc
	s_xor_b64 s[14:15], exec, s[14:15]
	s_cbranch_execz .LBB5_20
; %bb.19:
	s_mov_b32 s20, 0x2134d0ef
	v_add_f64 v[10:11], v[4:5], -2.0
	v_mov_b32_e32 v14, 0x977da589
	v_mov_b32_e32 v15, 0x3c833362
	s_mov_b32 s21, 0xbc545cb7
	v_fmac_f64_e32 v[14:15], s[20:21], v[10:11]
	v_mov_b32_e32 v16, 0x2134d0ef
	v_mov_b32_e32 v17, 0x3c545cb7
	s_mov_b32 s20, 0x721ebbb4
	v_fmac_f64_e32 v[16:17], v[10:11], v[14:15]
	s_mov_b32 s21, 0xbcb184eb
	v_add_f64 v[16:17], v[16:17], s[20:21]
	s_mov_b32 s20, 0x93f65eba
	v_fma_f64 v[14:15], v[10:11], v[16:17], -v[14:15]
	s_mov_b32 s21, 0x3cdee6d8
	v_add_f64 v[14:15], v[14:15], s[20:21]
	s_mov_b32 s20, 0xc297fbeb
	v_fma_f64 v[16:17], v[10:11], v[14:15], -v[16:17]
	;; [unrolled: 4-line block ×27, first 2 shown]
	s_mov_b32 s21, 0x3fe5a84e
	v_add_f64 v[10:11], v[10:11], s[20:21]
	s_mov_b32 s20, 0x652b82fe
	s_mov_b32 s21, 0x3ff71547
	v_mul_f64 v[16:17], v[12:13], s[20:21]
	s_mov_b32 s20, 0xfefa39ef
	v_rndne_f64_e32 v[16:17], v[16:17]
	s_mov_b32 s21, 0xbfe62e42
	v_fma_f64 v[18:19], s[20:21], v[16:17], v[12:13]
	s_mov_b32 s20, 0x3b39803f
	s_mov_b32 s21, 0xbc7abc9e
	v_fmac_f64_e32 v[18:19], s[20:21], v[16:17]
	s_mov_b32 s20, 0x6a5dcb37
	v_mov_b32_e32 v20, 0xfca7ab0c
	v_mov_b32_e32 v21, 0x3e928af3
	s_mov_b32 s21, 0x3e5ade15
	v_fmac_f64_e32 v[20:21], s[20:21], v[18:19]
	v_mov_b32_e32 v22, 0x623fde64
	v_mov_b32_e32 v23, 0x3ec71dee
	v_fmac_f64_e32 v[22:23], v[18:19], v[20:21]
	v_mov_b32_e32 v20, 0x7c89e6b0
	v_mov_b32_e32 v21, 0x3efa0199
	;; [unrolled: 3-line block ×8, first 2 shown]
	v_fmac_f64_e32 v[20:21], v[18:19], v[22:23]
	v_fma_f64 v[20:21], v[18:19], v[20:21], 1.0
	s_mov_b32 s20, 0
	v_fma_f64 v[18:19], v[18:19], v[20:21], 1.0
	v_cvt_i32_f64_e32 v16, v[16:17]
	s_mov_b32 s21, 0x40900000
	v_ldexp_f64 v[16:17], v[18:19], v16
	v_mov_b32_e32 v18, 0x7ff00000
	v_cmp_nlt_f64_e32 vcc, s[20:21], v[12:13]
	v_add_f64 v[10:11], v[10:11], -v[14:15]
	v_cndmask_b32_e32 v17, v18, v17, vcc
	v_cndmask_b32_e32 v16, 0, v16, vcc
	v_mul_f64 v[10:11], v[10:11], 0.5
	v_mul_f64 v[10:11], v[16:17], v[10:11]
.LBB5_20:
	s_andn2_saveexec_b64 s[14:15], s[14:15]
	s_cbranch_execz .LBB5_22
; %bb.21:
	s_mov_b32 s20, 0
	s_mov_b32 s21, 0x40400000
	v_div_scale_f64 v[10:11], s[22:23], v[12:13], v[12:13], s[20:21]
	v_rcp_f64_e32 v[14:15], v[10:11]
	v_mov_b32_e32 v20, 0xfca7ab0c
	v_mov_b32_e32 v21, 0x3e928af3
	;; [unrolled: 1-line block ×3, first 2 shown]
	v_fma_f64 v[16:17], -v[10:11], v[14:15], 1.0
	v_fmac_f64_e32 v[14:15], v[14:15], v[16:17]
	v_fma_f64 v[16:17], -v[10:11], v[14:15], 1.0
	v_fmac_f64_e32 v[14:15], v[14:15], v[16:17]
	v_div_scale_f64 v[16:17], vcc, s[20:21], v[12:13], s[20:21]
	v_mul_f64 v[18:19], v[16:17], v[14:15]
	v_fma_f64 v[10:11], -v[10:11], v[18:19], v[16:17]
	v_mov_b32_e32 v16, 0x54ca8b19
	s_nop 0
	v_div_fmas_f64 v[10:11], v[10:11], v[14:15], v[18:19]
	v_div_fixup_f64 v[10:11], v[10:11], v[12:13], s[20:21]
	s_mov_b32 s20, 0x54ca8b19
	v_add_f64 v[10:11], v[10:11], -2.0
	v_mov_b32_e32 v14, 0x66119130
	v_mov_b32_e32 v15, 0xbc5646da
	s_mov_b32 s21, 0xbc60adb7
	v_fmac_f64_e32 v[14:15], s[20:21], v[10:11]
	v_mov_b32_e32 v17, 0x3c60adb7
	s_mov_b32 s20, 0x12d98421
	v_fmac_f64_e32 v[16:17], v[10:11], v[14:15]
	s_mov_b32 s21, 0x3c89be18
	v_add_f64 v[16:17], v[16:17], s[20:21]
	s_mov_b32 s20, 0x76041cd
	v_fma_f64 v[14:15], v[10:11], v[16:17], -v[14:15]
	s_mov_b32 s21, 0x3c83f3dd
	v_add_f64 v[14:15], v[14:15], s[20:21]
	s_mov_b32 s20, 0xabd21fe4
	v_fma_f64 v[16:17], v[10:11], v[14:15], -v[16:17]
	;; [unrolled: 4-line block ×22, first 2 shown]
	s_mov_b32 s21, 0x3fe9be62
	v_add_f64 v[10:11], v[10:11], s[20:21]
	s_mov_b32 s20, 0x652b82fe
	s_mov_b32 s21, 0x3ff71547
	v_mul_f64 v[14:15], v[12:13], s[20:21]
	s_mov_b32 s20, 0xfefa39ef
	v_rndne_f64_e32 v[14:15], v[14:15]
	s_mov_b32 s21, 0xbfe62e42
	v_fma_f64 v[18:19], s[20:21], v[14:15], v[12:13]
	s_mov_b32 s20, 0x3b39803f
	s_mov_b32 s21, 0xbc7abc9e
	v_fmac_f64_e32 v[18:19], s[20:21], v[14:15]
	s_mov_b32 s20, 0x6a5dcb37
	s_mov_b32 s21, 0x3e5ade15
	v_fmac_f64_e32 v[20:21], s[20:21], v[18:19]
	v_mov_b32_e32 v23, 0x3ec71dee
	v_fmac_f64_e32 v[22:23], v[18:19], v[20:21]
	v_mov_b32_e32 v20, 0x7c89e6b0
	v_mov_b32_e32 v21, 0x3efa0199
	v_fmac_f64_e32 v[20:21], v[18:19], v[22:23]
	v_mov_b32_e32 v22, 0x14761f6e
	;; [unrolled: 3-line block ×7, first 2 shown]
	v_mov_b32_e32 v21, 0x3fe00000
	v_fmac_f64_e32 v[20:21], v[18:19], v[22:23]
	s_mov_b32 s20, 0
	v_fma_f64 v[20:21], v[18:19], v[20:21], 1.0
	s_mov_b32 s21, 0x40900000
	v_fma_f64 v[18:19], v[18:19], v[20:21], 1.0
	v_cvt_i32_f64_e32 v14, v[14:15]
	v_cmp_nlt_f64_e32 vcc, s[20:21], v[12:13]
	s_mov_b32 s20, 0
	v_ldexp_f64 v[14:15], v[18:19], v14
	v_mov_b32_e32 v18, 0x7ff00000
	s_brev_b32 s21, 8
	v_cndmask_b32_e32 v15, v18, v15, vcc
	v_cndmask_b32_e32 v14, 0, v14, vcc
	v_cmp_gt_f64_e32 vcc, s[20:21], v[12:13]
	v_cndmask_b32_e64 v18, 0, 1, vcc
	v_lshlrev_b32_e32 v18, 8, v18
	v_ldexp_f64 v[18:19], v[12:13], v18
	v_rsq_f64_e32 v[20:21], v[18:19]
	v_add_f64 v[10:11], v[10:11], -v[16:17]
	v_mul_f64 v[10:11], v[10:11], 0.5
	v_mul_f64 v[10:11], v[14:15], v[10:11]
	v_mul_f64 v[14:15], v[18:19], v[20:21]
	v_mul_f64 v[16:17], v[20:21], 0.5
	v_fma_f64 v[20:21], -v[16:17], v[14:15], 0.5
	v_fmac_f64_e32 v[14:15], v[14:15], v[20:21]
	v_fma_f64 v[22:23], -v[14:15], v[14:15], v[18:19]
	v_fmac_f64_e32 v[16:17], v[16:17], v[20:21]
	v_fmac_f64_e32 v[14:15], v[22:23], v[16:17]
	v_fma_f64 v[20:21], -v[14:15], v[14:15], v[18:19]
	v_fmac_f64_e32 v[14:15], v[20:21], v[16:17]
	v_mov_b32_e32 v16, 0xffffff80
	v_cndmask_b32_e32 v16, 0, v16, vcc
	v_ldexp_f64 v[14:15], v[14:15], v16
	v_mov_b32_e32 v16, 0x260
	v_cmp_class_f64_e32 vcc, v[18:19], v16
	v_cndmask_b32_e32 v15, v15, v19, vcc
	v_cndmask_b32_e32 v14, v14, v18, vcc
	v_div_scale_f64 v[16:17], s[20:21], v[14:15], v[14:15], v[10:11]
	v_rcp_f64_e32 v[18:19], v[16:17]
	v_fma_f64 v[20:21], -v[16:17], v[18:19], 1.0
	v_fmac_f64_e32 v[18:19], v[18:19], v[20:21]
	v_fma_f64 v[20:21], -v[16:17], v[18:19], 1.0
	v_fmac_f64_e32 v[18:19], v[18:19], v[20:21]
	v_div_scale_f64 v[20:21], vcc, v[10:11], v[14:15], v[10:11]
	v_mul_f64 v[22:23], v[20:21], v[18:19]
	v_fma_f64 v[16:17], -v[16:17], v[22:23], v[20:21]
	s_nop 1
	v_div_fmas_f64 v[16:17], v[16:17], v[18:19], v[22:23]
	v_div_fixup_f64 v[10:11], v[16:17], v[14:15], v[10:11]
.LBB5_22:
	s_or_b64 exec, exec, s[14:15]
	s_mov_b32 s14, 0xe6a7fd77
	v_fma_f64 v[12:13], v[12:13], v[12:13], -2.0
	v_mov_b32_e32 v14, 0xc384c2aa
	v_mov_b32_e32 v15, 0x3d27fb0a
	s_mov_b32 s15, 0x3ca3cee1
	v_fmac_f64_e32 v[14:15], s[14:15], v[12:13]
	v_mov_b32_e32 v16, 0xe6a7fd77
	v_mov_b32_e32 v17, 0xbca3cee1
	s_mov_b32 s14, 0x47512144
	v_fmac_f64_e32 v[16:17], v[12:13], v[14:15]
	s_mov_b32 s15, 0x3da6c25c
	v_add_f64 v[16:17], v[16:17], s[14:15]
	s_mov_b32 s14, 0x67e58a13
	v_fma_f64 v[14:15], v[12:13], v[16:17], -v[14:15]
	s_mov_b32 s15, 0x3e205c13
	v_add_f64 v[14:15], v[14:15], s[14:15]
	s_mov_b32 s14, 0xe7f95efc
	v_fma_f64 v[16:17], v[12:13], v[14:15], -v[16:17]
	s_mov_b32 s15, 0x3e9102bc
	v_add_f64 v[16:17], v[16:17], s[14:15]
	s_mov_b32 s14, 0xfe8cfca0
	v_fma_f64 v[14:15], v[12:13], v[16:17], -v[14:15]
	s_mov_b32 s15, 0x3ef7f900
	v_add_f64 v[14:15], v[14:15], s[14:15]
	s_mov_b32 s14, 0x75633d73
	v_fma_f64 v[16:17], v[12:13], v[14:15], -v[16:17]
	s_mov_b32 s15, 0x3f54b82e
	v_add_f64 v[16:17], v[16:17], s[14:15]
	s_mov_b32 s14, 0x554a9085
	v_fma_f64 v[14:15], v[12:13], v[16:17], -v[14:15]
	s_mov_b32 s15, 0x3fa26bf6
	v_add_f64 v[14:15], v[14:15], s[14:15]
	s_mov_b32 s14, 0x81213db9
	v_fma_f64 v[16:17], v[12:13], v[14:15], -v[16:17]
	s_mov_b32 s15, 0x3fd608d8
	v_add_f64 v[16:17], v[16:17], s[14:15]
	s_mov_b32 s14, 0xe9d2f61f
	v_fma_f64 v[12:13], v[12:13], v[16:17], -v[14:15]
	s_mov_b32 s15, 0xbfe12166
	v_add_f64 v[12:13], v[12:13], s[14:15]
	s_mov_b32 s14, 0x55555555
	v_add_f64 v[12:13], v[12:13], -v[14:15]
	v_frexp_mant_f64_e32 v[14:15], v[4:5]
	s_mov_b32 s15, 0x3fe55555
	v_mov_b32_e32 v16, 0x3ff00000
	v_cmp_gt_f64_e32 vcc, s[14:15], v[14:15]
	v_cndmask_b32_e64 v17, v16, 2.0, vcc
	v_mov_b32_e32 v16, 0
	v_mul_f64 v[14:15], v[14:15], v[16:17]
	v_frexp_exp_i32_f64_e32 v18, v[4:5]
	v_add_f64 v[16:17], v[14:15], 1.0
	v_subbrev_co_u32_e32 v28, vcc, 0, v18, vcc
	v_rcp_f64_e32 v[18:19], v[16:17]
	v_add_f64 v[22:23], v[16:17], -1.0
	v_add_f64 v[20:21], v[14:15], -1.0
	v_add_f64 v[14:15], v[14:15], -v[22:23]
	v_fma_f64 v[22:23], -v[16:17], v[18:19], 1.0
	v_fmac_f64_e32 v[18:19], v[22:23], v[18:19]
	v_fma_f64 v[22:23], -v[16:17], v[18:19], 1.0
	v_fmac_f64_e32 v[18:19], v[22:23], v[18:19]
	v_mul_f64 v[22:23], v[20:21], v[18:19]
	v_mul_f64 v[24:25], v[16:17], v[22:23]
	v_fma_f64 v[16:17], v[22:23], v[16:17], -v[24:25]
	v_fmac_f64_e32 v[16:17], v[22:23], v[14:15]
	v_add_f64 v[14:15], v[24:25], v[16:17]
	v_add_f64 v[26:27], v[20:21], -v[14:15]
	v_add_f64 v[24:25], v[14:15], -v[24:25]
	;; [unrolled: 1-line block ×5, first 2 shown]
	v_add_f64 v[14:15], v[16:17], v[14:15]
	v_add_f64 v[14:15], v[26:27], v[14:15]
	v_mul_f64 v[14:15], v[18:19], v[14:15]
	v_add_f64 v[16:17], v[22:23], v[14:15]
	v_add_f64 v[18:19], v[16:17], -v[22:23]
	s_mov_b32 s14, 0xbf559e2b
	v_add_f64 v[14:15], v[14:15], -v[18:19]
	v_mul_f64 v[18:19], v[16:17], v[16:17]
	v_mov_b32_e32 v20, 0x6b47b09a
	v_mov_b32_e32 v21, 0x3fc38538
	s_mov_b32 s15, 0x3fc3ab76
	v_fmac_f64_e32 v[20:21], s[14:15], v[18:19]
	v_mov_b32_e32 v22, 0xd7f4df2e
	v_mov_b32_e32 v23, 0x3fc7474d
	v_fmac_f64_e32 v[22:23], v[18:19], v[20:21]
	v_mov_b32_e32 v20, 0x16291751
	v_mov_b32_e32 v21, 0x3fcc71c0
	;; [unrolled: 3-line block ×5, first 2 shown]
	v_fmac_f64_e32 v[22:23], v[18:19], v[20:21]
	v_ldexp_f64 v[20:21], v[16:17], 1
	v_mul_f64 v[16:17], v[16:17], v[18:19]
	v_mul_f64 v[16:17], v[16:17], v[22:23]
	v_add_f64 v[18:19], v[20:21], v[16:17]
	v_add_f64 v[20:21], v[18:19], -v[20:21]
	v_ldexp_f64 v[14:15], v[14:15], 1
	v_add_f64 v[16:17], v[16:17], -v[20:21]
	v_add_f64 v[14:15], v[14:15], v[16:17]
	v_add_f64 v[16:17], v[18:19], v[14:15]
	v_add_f64 v[18:19], v[16:17], -v[18:19]
	s_mov_b32 s14, 0xfefa39ef
	v_add_f64 v[14:15], v[14:15], -v[18:19]
	v_cvt_f64_i32_e32 v[18:19], v28
	s_mov_b32 s15, 0x3fe62e42
	v_mul_f64 v[20:21], v[18:19], s[14:15]
	v_fma_f64 v[22:23], v[18:19], s[14:15], -v[20:21]
	s_mov_b32 s14, 0x3b39803f
	s_mov_b32 s15, 0x3c7abc9e
	v_fmac_f64_e32 v[22:23], s[14:15], v[18:19]
	v_add_f64 v[18:19], v[20:21], v[22:23]
	v_add_f64 v[20:21], v[18:19], -v[20:21]
	v_add_f64 v[20:21], v[22:23], -v[20:21]
	v_add_f64 v[22:23], v[18:19], v[16:17]
	v_add_f64 v[24:25], v[22:23], -v[18:19]
	v_add_f64 v[26:27], v[22:23], -v[24:25]
	;; [unrolled: 1-line block ×4, first 2 shown]
	v_add_f64 v[16:17], v[16:17], v[18:19]
	v_add_f64 v[18:19], v[20:21], v[14:15]
	v_add_f64 v[24:25], v[18:19], -v[20:21]
	v_add_f64 v[26:27], v[18:19], -v[24:25]
	v_add_f64 v[16:17], v[18:19], v[16:17]
	v_add_f64 v[20:21], v[20:21], -v[26:27]
	v_add_f64 v[14:15], v[14:15], -v[24:25]
	v_add_f64 v[18:19], v[22:23], v[16:17]
	v_add_f64 v[14:15], v[14:15], v[20:21]
	v_add_f64 v[20:21], v[18:19], -v[22:23]
	v_add_f64 v[16:17], v[16:17], -v[20:21]
	s_mov_b32 s14, 0
	v_add_f64 v[14:15], v[14:15], v[16:17]
	s_mov_b32 s15, 0x7ff00000
	v_add_f64 v[14:15], v[18:19], v[14:15]
	v_cmp_eq_f64_e32 vcc, s[14:15], v[4:5]
	v_cndmask_b32_e32 v14, v14, v4, vcc
	v_cndmask_b32_e32 v15, v15, v5, vcc
	v_mov_b32_e32 v16, 0xfff00000
	v_cmp_neq_f64_e32 vcc, 0, v[4:5]
	v_cndmask_b32_e32 v5, v16, v15, vcc
	v_cndmask_b32_e32 v4, 0, v14, vcc
	v_mul_f64 v[4:5], v[4:5], v[10:11]
	v_fma_f64 v[4:5], v[12:13], 0.5, -v[4:5]
                                        ; implicit-def: $vgpr12_vgpr13
.LBB5_23:
	s_andn2_saveexec_b64 s[12:13], s[12:13]
	s_cbranch_execz .LBB5_25
; %bb.24:
	s_mov_b32 s14, 0
	s_mov_b32 s15, 0x40200000
	v_div_scale_f64 v[4:5], s[20:21], v[12:13], v[12:13], s[14:15]
	v_rcp_f64_e32 v[10:11], v[4:5]
	v_mov_b32_e32 v18, 0xfca7ab0c
	v_mov_b32_e32 v19, 0x3e928af3
	;; [unrolled: 1-line block ×3, first 2 shown]
	v_fma_f64 v[14:15], -v[4:5], v[10:11], 1.0
	v_fmac_f64_e32 v[10:11], v[10:11], v[14:15]
	v_fma_f64 v[14:15], -v[4:5], v[10:11], 1.0
	v_fmac_f64_e32 v[10:11], v[10:11], v[14:15]
	v_div_scale_f64 v[14:15], vcc, s[14:15], v[12:13], s[14:15]
	v_mul_f64 v[16:17], v[14:15], v[10:11]
	v_fma_f64 v[4:5], -v[4:5], v[16:17], v[14:15]
	v_mov_b32_e32 v14, 0xcf8c9ee1
	s_nop 0
	v_div_fmas_f64 v[4:5], v[4:5], v[10:11], v[16:17]
	v_div_fixup_f64 v[4:5], v[4:5], v[12:13], s[14:15]
	s_mov_b32 s14, 0xcf8c9ee1
	v_add_f64 v[4:5], v[4:5], -2.0
	v_mov_b32_e32 v10, 0x93812603
	v_mov_b32_e32 v11, 0xbc72fecc
	s_mov_b32 s15, 0x3c5871a5
	v_fmac_f64_e32 v[10:11], s[14:15], v[4:5]
	v_mov_b32_e32 v15, 0xbc5871a5
	s_mov_b32 s14, 0x41a8cdf4
	v_fmac_f64_e32 v[14:15], v[4:5], v[10:11]
	s_mov_b32 s15, 0x3c8e092e
	v_add_f64 v[14:15], v[14:15], s[14:15]
	s_mov_b32 s14, 0x74d77641
	v_fma_f64 v[10:11], v[4:5], v[14:15], -v[10:11]
	s_mov_b32 s15, 0xbca82f94
	v_add_f64 v[10:11], v[10:11], s[14:15]
	s_mov_b32 s14, 0x6b94785b
	v_fma_f64 v[14:15], v[4:5], v[10:11], -v[14:15]
	;; [unrolled: 4-line block ×22, first 2 shown]
	s_mov_b32 s15, 0x400385bd
	v_add_f64 v[4:5], v[4:5], s[14:15]
	s_mov_b32 s14, 0x652b82fe
	s_mov_b32 s15, 0xbff71547
	v_mul_f64 v[10:11], v[12:13], s[14:15]
	s_mov_b32 s14, 0xfefa39ef
	v_rndne_f64_e32 v[10:11], v[10:11]
	s_mov_b32 s15, 0xbfe62e42
	v_fma_f64 v[16:17], v[10:11], s[14:15], -v[12:13]
	s_mov_b32 s14, 0x3b39803f
	s_mov_b32 s15, 0xbc7abc9e
	v_fmac_f64_e32 v[16:17], s[14:15], v[10:11]
	s_mov_b32 s14, 0x6a5dcb37
	s_mov_b32 s15, 0x3e5ade15
	v_fmac_f64_e32 v[18:19], s[14:15], v[16:17]
	v_mov_b32_e32 v21, 0x3ec71dee
	v_fmac_f64_e32 v[20:21], v[16:17], v[18:19]
	v_mov_b32_e32 v18, 0x7c89e6b0
	v_mov_b32_e32 v19, 0x3efa0199
	v_fmac_f64_e32 v[18:19], v[16:17], v[20:21]
	v_mov_b32_e32 v20, 0x14761f6e
	;; [unrolled: 3-line block ×7, first 2 shown]
	v_mov_b32_e32 v19, 0x3fe00000
	v_fmac_f64_e32 v[18:19], v[16:17], v[20:21]
	s_mov_b32 s14, 0
	v_fma_f64 v[18:19], v[16:17], v[18:19], 1.0
	s_mov_b32 s15, 0x4090cc00
	v_fma_f64 v[16:17], v[16:17], v[18:19], 1.0
	v_cvt_i32_f64_e32 v10, v[10:11]
	v_cmp_nlt_f64_e32 vcc, s[14:15], v[12:13]
	s_mov_b32 s14, 0
	v_ldexp_f64 v[10:11], v[16:17], v10
	s_brev_b32 s15, 8
	v_cndmask_b32_e32 v11, 0, v11, vcc
	v_cndmask_b32_e32 v10, 0, v10, vcc
	v_cmp_gt_f64_e32 vcc, s[14:15], v[12:13]
	v_cndmask_b32_e64 v16, 0, 1, vcc
	v_lshlrev_b32_e32 v16, 8, v16
	v_ldexp_f64 v[12:13], v[12:13], v16
	v_rsq_f64_e32 v[16:17], v[12:13]
	v_add_f64 v[4:5], v[4:5], -v[14:15]
	v_mul_f64 v[4:5], v[4:5], 0.5
	v_mul_f64 v[4:5], v[10:11], v[4:5]
	v_mul_f64 v[10:11], v[12:13], v[16:17]
	v_mul_f64 v[14:15], v[16:17], 0.5
	v_fma_f64 v[16:17], -v[14:15], v[10:11], 0.5
	v_fmac_f64_e32 v[10:11], v[10:11], v[16:17]
	v_fma_f64 v[18:19], -v[10:11], v[10:11], v[12:13]
	v_fmac_f64_e32 v[14:15], v[14:15], v[16:17]
	v_fmac_f64_e32 v[10:11], v[18:19], v[14:15]
	v_fma_f64 v[16:17], -v[10:11], v[10:11], v[12:13]
	v_fmac_f64_e32 v[10:11], v[16:17], v[14:15]
	v_mov_b32_e32 v14, 0xffffff80
	v_cndmask_b32_e32 v14, 0, v14, vcc
	v_ldexp_f64 v[10:11], v[10:11], v14
	v_mov_b32_e32 v14, 0x260
	v_cmp_class_f64_e32 vcc, v[12:13], v14
	v_cndmask_b32_e32 v11, v11, v13, vcc
	v_cndmask_b32_e32 v10, v10, v12, vcc
	v_div_scale_f64 v[12:13], s[14:15], v[10:11], v[10:11], v[4:5]
	v_rcp_f64_e32 v[14:15], v[12:13]
	v_fma_f64 v[16:17], -v[12:13], v[14:15], 1.0
	v_fmac_f64_e32 v[14:15], v[14:15], v[16:17]
	v_fma_f64 v[16:17], -v[12:13], v[14:15], 1.0
	v_fmac_f64_e32 v[14:15], v[14:15], v[16:17]
	v_div_scale_f64 v[16:17], vcc, v[4:5], v[10:11], v[4:5]
	v_mul_f64 v[18:19], v[16:17], v[14:15]
	v_fma_f64 v[12:13], -v[12:13], v[18:19], v[16:17]
	s_nop 1
	v_div_fmas_f64 v[12:13], v[12:13], v[14:15], v[18:19]
	v_div_fixup_f64 v[4:5], v[12:13], v[10:11], v[4:5]
.LBB5_25:
	s_or_b64 exec, exec, s[12:13]
.LBB5_26:
	s_or_b64 exec, exec, s[10:11]
.LBB5_27:
	s_or_b64 exec, exec, s[6:7]
	v_mov_b32_e32 v12, 0
	v_mov_b32_e32 v13, 0x7ff00000
	s_waitcnt vmcnt(0)
	v_cmp_neq_f64_e32 vcc, 0, v[6:7]
	v_pk_mov_b32 v[10:11], v[12:13], v[12:13] op_sel:[0,1]
	s_and_saveexec_b64 s[6:7], vcc
	s_cbranch_execz .LBB5_39
; %bb.28:
	v_mov_b32_e32 v10, 0
	v_cmp_ngt_f64_e32 vcc, 0, v[6:7]
	v_mov_b32_e32 v11, 0x7ff80000
	s_and_saveexec_b64 s[10:11], vcc
	s_cbranch_execz .LBB5_38
; %bb.29:
	v_cmp_ge_f64_e32 vcc, 2.0, v[6:7]
	s_and_saveexec_b64 s[12:13], vcc
	s_xor_b64 s[12:13], exec, s[12:13]
	s_cbranch_execz .LBB5_35
; %bb.30:
	s_mov_b32 s14, 0
	s_mov_b32 s15, 0x40200000
	v_mul_f64 v[10:11], v[6:7], 0.5
	v_cmp_ge_f64_e32 vcc, s[14:15], v[6:7]
                                        ; implicit-def: $vgpr14_vgpr15
	s_and_saveexec_b64 s[14:15], vcc
	s_xor_b64 s[14:15], exec, s[14:15]
	s_cbranch_execz .LBB5_32
; %bb.31:
	s_mov_b32 s20, 0x2134d0ef
	v_add_f64 v[14:15], v[10:11], -2.0
	v_mov_b32_e32 v16, 0x977da589
	v_mov_b32_e32 v17, 0x3c833362
	s_mov_b32 s21, 0xbc545cb7
	v_fmac_f64_e32 v[16:17], s[20:21], v[14:15]
	v_mov_b32_e32 v18, 0x2134d0ef
	v_mov_b32_e32 v19, 0x3c545cb7
	s_mov_b32 s20, 0x721ebbb4
	v_fmac_f64_e32 v[18:19], v[14:15], v[16:17]
	s_mov_b32 s21, 0xbcb184eb
	v_add_f64 v[18:19], v[18:19], s[20:21]
	s_mov_b32 s20, 0x93f65eba
	v_fma_f64 v[16:17], v[14:15], v[18:19], -v[16:17]
	s_mov_b32 s21, 0x3cdee6d8
	v_add_f64 v[16:17], v[16:17], s[20:21]
	s_mov_b32 s20, 0xc297fbeb
	v_fma_f64 v[18:19], v[14:15], v[16:17], -v[18:19]
	;; [unrolled: 4-line block ×27, first 2 shown]
	s_mov_b32 s21, 0x3fe5a84e
	v_add_f64 v[14:15], v[14:15], s[20:21]
	s_mov_b32 s20, 0x652b82fe
	s_mov_b32 s21, 0x3ff71547
	v_mul_f64 v[18:19], v[6:7], s[20:21]
	s_mov_b32 s20, 0xfefa39ef
	v_rndne_f64_e32 v[18:19], v[18:19]
	s_mov_b32 s21, 0xbfe62e42
	v_fma_f64 v[20:21], s[20:21], v[18:19], v[6:7]
	s_mov_b32 s20, 0x3b39803f
	s_mov_b32 s21, 0xbc7abc9e
	v_fmac_f64_e32 v[20:21], s[20:21], v[18:19]
	s_mov_b32 s20, 0x6a5dcb37
	v_mov_b32_e32 v22, 0xfca7ab0c
	v_mov_b32_e32 v23, 0x3e928af3
	s_mov_b32 s21, 0x3e5ade15
	v_fmac_f64_e32 v[22:23], s[20:21], v[20:21]
	v_mov_b32_e32 v24, 0x623fde64
	v_mov_b32_e32 v25, 0x3ec71dee
	v_fmac_f64_e32 v[24:25], v[20:21], v[22:23]
	v_mov_b32_e32 v22, 0x7c89e6b0
	v_mov_b32_e32 v23, 0x3efa0199
	;; [unrolled: 3-line block ×8, first 2 shown]
	v_fmac_f64_e32 v[22:23], v[20:21], v[24:25]
	v_fma_f64 v[22:23], v[20:21], v[22:23], 1.0
	s_mov_b32 s20, 0
	v_fma_f64 v[20:21], v[20:21], v[22:23], 1.0
	v_cvt_i32_f64_e32 v18, v[18:19]
	s_mov_b32 s21, 0x40900000
	v_ldexp_f64 v[18:19], v[20:21], v18
	v_mov_b32_e32 v20, 0x7ff00000
	v_cmp_nlt_f64_e32 vcc, s[20:21], v[6:7]
	v_add_f64 v[14:15], v[14:15], -v[16:17]
	v_cndmask_b32_e32 v19, v20, v19, vcc
	v_cndmask_b32_e32 v18, 0, v18, vcc
	v_mul_f64 v[14:15], v[14:15], 0.5
	v_mul_f64 v[14:15], v[18:19], v[14:15]
.LBB5_32:
	s_andn2_saveexec_b64 s[14:15], s[14:15]
	s_cbranch_execz .LBB5_34
; %bb.33:
	s_mov_b32 s20, 0
	s_mov_b32 s21, 0x40400000
	v_div_scale_f64 v[14:15], s[22:23], v[6:7], v[6:7], s[20:21]
	v_rcp_f64_e32 v[16:17], v[14:15]
	v_mov_b32_e32 v22, 0xfca7ab0c
	v_mov_b32_e32 v23, 0x3e928af3
	;; [unrolled: 1-line block ×3, first 2 shown]
	v_fma_f64 v[18:19], -v[14:15], v[16:17], 1.0
	v_fmac_f64_e32 v[16:17], v[16:17], v[18:19]
	v_fma_f64 v[18:19], -v[14:15], v[16:17], 1.0
	v_fmac_f64_e32 v[16:17], v[16:17], v[18:19]
	v_div_scale_f64 v[18:19], vcc, s[20:21], v[6:7], s[20:21]
	v_mul_f64 v[20:21], v[18:19], v[16:17]
	v_fma_f64 v[14:15], -v[14:15], v[20:21], v[18:19]
	v_mov_b32_e32 v18, 0x54ca8b19
	s_nop 0
	v_div_fmas_f64 v[14:15], v[14:15], v[16:17], v[20:21]
	v_div_fixup_f64 v[14:15], v[14:15], v[6:7], s[20:21]
	s_mov_b32 s20, 0x54ca8b19
	v_add_f64 v[14:15], v[14:15], -2.0
	v_mov_b32_e32 v16, 0x66119130
	v_mov_b32_e32 v17, 0xbc5646da
	s_mov_b32 s21, 0xbc60adb7
	v_fmac_f64_e32 v[16:17], s[20:21], v[14:15]
	v_mov_b32_e32 v19, 0x3c60adb7
	s_mov_b32 s20, 0x12d98421
	v_fmac_f64_e32 v[18:19], v[14:15], v[16:17]
	s_mov_b32 s21, 0x3c89be18
	v_add_f64 v[18:19], v[18:19], s[20:21]
	s_mov_b32 s20, 0x76041cd
	v_fma_f64 v[16:17], v[14:15], v[18:19], -v[16:17]
	s_mov_b32 s21, 0x3c83f3dd
	v_add_f64 v[16:17], v[16:17], s[20:21]
	s_mov_b32 s20, 0xabd21fe4
	v_fma_f64 v[18:19], v[14:15], v[16:17], -v[18:19]
	;; [unrolled: 4-line block ×22, first 2 shown]
	s_mov_b32 s21, 0x3fe9be62
	v_add_f64 v[14:15], v[14:15], s[20:21]
	s_mov_b32 s20, 0x652b82fe
	s_mov_b32 s21, 0x3ff71547
	v_mul_f64 v[16:17], v[6:7], s[20:21]
	s_mov_b32 s20, 0xfefa39ef
	v_rndne_f64_e32 v[16:17], v[16:17]
	s_mov_b32 s21, 0xbfe62e42
	v_fma_f64 v[20:21], s[20:21], v[16:17], v[6:7]
	s_mov_b32 s20, 0x3b39803f
	s_mov_b32 s21, 0xbc7abc9e
	v_fmac_f64_e32 v[20:21], s[20:21], v[16:17]
	s_mov_b32 s20, 0x6a5dcb37
	s_mov_b32 s21, 0x3e5ade15
	v_fmac_f64_e32 v[22:23], s[20:21], v[20:21]
	v_mov_b32_e32 v25, 0x3ec71dee
	v_fmac_f64_e32 v[24:25], v[20:21], v[22:23]
	v_mov_b32_e32 v22, 0x7c89e6b0
	v_mov_b32_e32 v23, 0x3efa0199
	v_fmac_f64_e32 v[22:23], v[20:21], v[24:25]
	v_mov_b32_e32 v24, 0x14761f6e
	;; [unrolled: 3-line block ×7, first 2 shown]
	v_mov_b32_e32 v23, 0x3fe00000
	v_fmac_f64_e32 v[22:23], v[20:21], v[24:25]
	s_mov_b32 s20, 0
	v_fma_f64 v[22:23], v[20:21], v[22:23], 1.0
	s_mov_b32 s21, 0x40900000
	v_fma_f64 v[20:21], v[20:21], v[22:23], 1.0
	v_cvt_i32_f64_e32 v16, v[16:17]
	v_cmp_nlt_f64_e32 vcc, s[20:21], v[6:7]
	s_mov_b32 s20, 0
	v_ldexp_f64 v[16:17], v[20:21], v16
	v_mov_b32_e32 v20, 0x7ff00000
	s_brev_b32 s21, 8
	v_cndmask_b32_e32 v17, v20, v17, vcc
	v_cndmask_b32_e32 v16, 0, v16, vcc
	v_cmp_gt_f64_e32 vcc, s[20:21], v[6:7]
	v_cndmask_b32_e64 v20, 0, 1, vcc
	v_lshlrev_b32_e32 v20, 8, v20
	v_ldexp_f64 v[20:21], v[6:7], v20
	v_rsq_f64_e32 v[22:23], v[20:21]
	v_add_f64 v[14:15], v[14:15], -v[18:19]
	v_mul_f64 v[14:15], v[14:15], 0.5
	v_mul_f64 v[14:15], v[16:17], v[14:15]
	v_mul_f64 v[16:17], v[20:21], v[22:23]
	v_mul_f64 v[18:19], v[22:23], 0.5
	v_fma_f64 v[22:23], -v[18:19], v[16:17], 0.5
	v_fmac_f64_e32 v[16:17], v[16:17], v[22:23]
	v_fma_f64 v[24:25], -v[16:17], v[16:17], v[20:21]
	v_fmac_f64_e32 v[18:19], v[18:19], v[22:23]
	v_fmac_f64_e32 v[16:17], v[24:25], v[18:19]
	v_fma_f64 v[22:23], -v[16:17], v[16:17], v[20:21]
	v_fmac_f64_e32 v[16:17], v[22:23], v[18:19]
	v_mov_b32_e32 v18, 0xffffff80
	v_cndmask_b32_e32 v18, 0, v18, vcc
	v_ldexp_f64 v[16:17], v[16:17], v18
	v_mov_b32_e32 v18, 0x260
	v_cmp_class_f64_e32 vcc, v[20:21], v18
	v_cndmask_b32_e32 v17, v17, v21, vcc
	v_cndmask_b32_e32 v16, v16, v20, vcc
	v_div_scale_f64 v[18:19], s[20:21], v[16:17], v[16:17], v[14:15]
	v_rcp_f64_e32 v[20:21], v[18:19]
	v_fma_f64 v[22:23], -v[18:19], v[20:21], 1.0
	v_fmac_f64_e32 v[20:21], v[20:21], v[22:23]
	v_fma_f64 v[22:23], -v[18:19], v[20:21], 1.0
	v_fmac_f64_e32 v[20:21], v[20:21], v[22:23]
	v_div_scale_f64 v[22:23], vcc, v[14:15], v[16:17], v[14:15]
	v_mul_f64 v[24:25], v[22:23], v[20:21]
	v_fma_f64 v[18:19], -v[18:19], v[24:25], v[22:23]
	s_nop 1
	v_div_fmas_f64 v[18:19], v[18:19], v[20:21], v[24:25]
	v_div_fixup_f64 v[14:15], v[18:19], v[16:17], v[14:15]
.LBB5_34:
	s_or_b64 exec, exec, s[14:15]
	s_mov_b32 s14, 0xe6a7fd77
	v_fma_f64 v[6:7], v[6:7], v[6:7], -2.0
	v_mov_b32_e32 v16, 0xc384c2aa
	v_mov_b32_e32 v17, 0x3d27fb0a
	s_mov_b32 s15, 0x3ca3cee1
	v_fmac_f64_e32 v[16:17], s[14:15], v[6:7]
	v_mov_b32_e32 v18, 0xe6a7fd77
	v_mov_b32_e32 v19, 0xbca3cee1
	s_mov_b32 s14, 0x47512144
	v_fmac_f64_e32 v[18:19], v[6:7], v[16:17]
	s_mov_b32 s15, 0x3da6c25c
	v_add_f64 v[18:19], v[18:19], s[14:15]
	s_mov_b32 s14, 0x67e58a13
	v_fma_f64 v[16:17], v[6:7], v[18:19], -v[16:17]
	s_mov_b32 s15, 0x3e205c13
	v_add_f64 v[16:17], v[16:17], s[14:15]
	s_mov_b32 s14, 0xe7f95efc
	v_fma_f64 v[18:19], v[6:7], v[16:17], -v[18:19]
	;; [unrolled: 4-line block ×7, first 2 shown]
	s_mov_b32 s15, 0xbfe12166
	v_add_f64 v[6:7], v[6:7], s[14:15]
	s_mov_b32 s14, 0x55555555
	v_add_f64 v[6:7], v[6:7], -v[16:17]
	v_frexp_mant_f64_e32 v[16:17], v[10:11]
	s_mov_b32 s15, 0x3fe55555
	v_mov_b32_e32 v18, 0x3ff00000
	v_cmp_gt_f64_e32 vcc, s[14:15], v[16:17]
	v_cndmask_b32_e64 v19, v18, 2.0, vcc
	v_mov_b32_e32 v18, 0
	v_mul_f64 v[16:17], v[16:17], v[18:19]
	v_frexp_exp_i32_f64_e32 v20, v[10:11]
	v_add_f64 v[18:19], v[16:17], 1.0
	v_subbrev_co_u32_e32 v30, vcc, 0, v20, vcc
	v_rcp_f64_e32 v[20:21], v[18:19]
	v_add_f64 v[24:25], v[18:19], -1.0
	v_add_f64 v[22:23], v[16:17], -1.0
	v_add_f64 v[16:17], v[16:17], -v[24:25]
	v_fma_f64 v[24:25], -v[18:19], v[20:21], 1.0
	v_fmac_f64_e32 v[20:21], v[24:25], v[20:21]
	v_fma_f64 v[24:25], -v[18:19], v[20:21], 1.0
	v_fmac_f64_e32 v[20:21], v[24:25], v[20:21]
	v_mul_f64 v[24:25], v[22:23], v[20:21]
	v_mul_f64 v[26:27], v[18:19], v[24:25]
	v_fma_f64 v[18:19], v[24:25], v[18:19], -v[26:27]
	v_fmac_f64_e32 v[18:19], v[24:25], v[16:17]
	v_add_f64 v[16:17], v[26:27], v[18:19]
	v_add_f64 v[28:29], v[22:23], -v[16:17]
	v_add_f64 v[26:27], v[16:17], -v[26:27]
	v_add_f64 v[22:23], v[22:23], -v[28:29]
	v_add_f64 v[16:17], v[22:23], -v[16:17]
	v_add_f64 v[18:19], v[26:27], -v[18:19]
	v_add_f64 v[16:17], v[18:19], v[16:17]
	v_add_f64 v[16:17], v[28:29], v[16:17]
	v_mul_f64 v[16:17], v[20:21], v[16:17]
	v_add_f64 v[18:19], v[24:25], v[16:17]
	v_add_f64 v[20:21], v[18:19], -v[24:25]
	s_mov_b32 s14, 0xbf559e2b
	v_add_f64 v[16:17], v[16:17], -v[20:21]
	v_mul_f64 v[20:21], v[18:19], v[18:19]
	v_mov_b32_e32 v22, 0x6b47b09a
	v_mov_b32_e32 v23, 0x3fc38538
	s_mov_b32 s15, 0x3fc3ab76
	v_fmac_f64_e32 v[22:23], s[14:15], v[20:21]
	v_mov_b32_e32 v24, 0xd7f4df2e
	v_mov_b32_e32 v25, 0x3fc7474d
	v_fmac_f64_e32 v[24:25], v[20:21], v[22:23]
	v_mov_b32_e32 v22, 0x16291751
	v_mov_b32_e32 v23, 0x3fcc71c0
	v_fmac_f64_e32 v[22:23], v[20:21], v[24:25]
	v_mov_b32_e32 v24, 0x9b27acf1
	v_mov_b32_e32 v25, 0x3fd24924
	v_fmac_f64_e32 v[24:25], v[20:21], v[22:23]
	v_mov_b32_e32 v22, 0x998ef7b6
	v_mov_b32_e32 v23, 0x3fd99999
	v_fmac_f64_e32 v[22:23], v[20:21], v[24:25]
	v_mov_b32_e32 v24, 0x55555780
	v_mov_b32_e32 v25, 0x3fe55555
	v_fmac_f64_e32 v[24:25], v[20:21], v[22:23]
	v_ldexp_f64 v[22:23], v[18:19], 1
	v_mul_f64 v[18:19], v[18:19], v[20:21]
	v_mul_f64 v[18:19], v[18:19], v[24:25]
	v_add_f64 v[20:21], v[22:23], v[18:19]
	v_add_f64 v[22:23], v[20:21], -v[22:23]
	v_ldexp_f64 v[16:17], v[16:17], 1
	v_add_f64 v[18:19], v[18:19], -v[22:23]
	v_add_f64 v[16:17], v[16:17], v[18:19]
	v_add_f64 v[18:19], v[20:21], v[16:17]
	v_add_f64 v[20:21], v[18:19], -v[20:21]
	s_mov_b32 s14, 0xfefa39ef
	v_add_f64 v[16:17], v[16:17], -v[20:21]
	v_cvt_f64_i32_e32 v[20:21], v30
	s_mov_b32 s15, 0x3fe62e42
	v_mul_f64 v[22:23], v[20:21], s[14:15]
	v_fma_f64 v[24:25], v[20:21], s[14:15], -v[22:23]
	s_mov_b32 s14, 0x3b39803f
	s_mov_b32 s15, 0x3c7abc9e
	v_fmac_f64_e32 v[24:25], s[14:15], v[20:21]
	v_add_f64 v[20:21], v[22:23], v[24:25]
	v_add_f64 v[22:23], v[20:21], -v[22:23]
	v_add_f64 v[22:23], v[24:25], -v[22:23]
	v_add_f64 v[24:25], v[20:21], v[18:19]
	v_add_f64 v[26:27], v[24:25], -v[20:21]
	v_add_f64 v[28:29], v[24:25], -v[26:27]
	;; [unrolled: 1-line block ×4, first 2 shown]
	v_add_f64 v[18:19], v[18:19], v[20:21]
	v_add_f64 v[20:21], v[22:23], v[16:17]
	v_add_f64 v[26:27], v[20:21], -v[22:23]
	v_add_f64 v[28:29], v[20:21], -v[26:27]
	v_add_f64 v[18:19], v[20:21], v[18:19]
	v_add_f64 v[22:23], v[22:23], -v[28:29]
	v_add_f64 v[16:17], v[16:17], -v[26:27]
	v_add_f64 v[20:21], v[24:25], v[18:19]
	v_add_f64 v[16:17], v[16:17], v[22:23]
	v_add_f64 v[22:23], v[20:21], -v[24:25]
	v_add_f64 v[18:19], v[18:19], -v[22:23]
	s_mov_b32 s14, 0
	v_add_f64 v[16:17], v[16:17], v[18:19]
	s_mov_b32 s15, 0x7ff00000
	v_add_f64 v[16:17], v[20:21], v[16:17]
	v_cmp_eq_f64_e32 vcc, s[14:15], v[10:11]
	v_cndmask_b32_e32 v16, v16, v10, vcc
	v_cndmask_b32_e32 v17, v17, v11, vcc
	v_mov_b32_e32 v18, 0xfff00000
	v_cmp_neq_f64_e32 vcc, 0, v[10:11]
	v_cndmask_b32_e32 v11, v18, v17, vcc
	v_cndmask_b32_e32 v10, 0, v16, vcc
	v_mul_f64 v[10:11], v[10:11], v[14:15]
	v_fma_f64 v[10:11], v[6:7], 0.5, -v[10:11]
.LBB5_35:
	s_andn2_saveexec_b64 s[12:13], s[12:13]
	s_cbranch_execz .LBB5_37
; %bb.36:
	s_mov_b32 s14, 0
	s_mov_b32 s15, 0x40200000
	v_div_scale_f64 v[10:11], s[20:21], v[6:7], v[6:7], s[14:15]
	v_rcp_f64_e32 v[14:15], v[10:11]
	v_mov_b32_e32 v20, 0xfca7ab0c
	v_mov_b32_e32 v21, 0x3e928af3
	;; [unrolled: 1-line block ×3, first 2 shown]
	v_fma_f64 v[16:17], -v[10:11], v[14:15], 1.0
	v_fmac_f64_e32 v[14:15], v[14:15], v[16:17]
	v_fma_f64 v[16:17], -v[10:11], v[14:15], 1.0
	v_fmac_f64_e32 v[14:15], v[14:15], v[16:17]
	v_div_scale_f64 v[16:17], vcc, s[14:15], v[6:7], s[14:15]
	v_mul_f64 v[18:19], v[16:17], v[14:15]
	v_fma_f64 v[10:11], -v[10:11], v[18:19], v[16:17]
	v_mov_b32_e32 v16, 0xcf8c9ee1
	s_nop 0
	v_div_fmas_f64 v[10:11], v[10:11], v[14:15], v[18:19]
	v_div_fixup_f64 v[10:11], v[10:11], v[6:7], s[14:15]
	s_mov_b32 s14, 0xcf8c9ee1
	v_add_f64 v[10:11], v[10:11], -2.0
	v_mov_b32_e32 v14, 0x93812603
	v_mov_b32_e32 v15, 0xbc72fecc
	s_mov_b32 s15, 0x3c5871a5
	v_fmac_f64_e32 v[14:15], s[14:15], v[10:11]
	v_mov_b32_e32 v17, 0xbc5871a5
	s_mov_b32 s14, 0x41a8cdf4
	v_fmac_f64_e32 v[16:17], v[10:11], v[14:15]
	s_mov_b32 s15, 0x3c8e092e
	v_add_f64 v[16:17], v[16:17], s[14:15]
	s_mov_b32 s14, 0x74d77641
	v_fma_f64 v[14:15], v[10:11], v[16:17], -v[14:15]
	s_mov_b32 s15, 0xbca82f94
	v_add_f64 v[14:15], v[14:15], s[14:15]
	s_mov_b32 s14, 0x6b94785b
	v_fma_f64 v[16:17], v[10:11], v[14:15], -v[16:17]
	;; [unrolled: 4-line block ×22, first 2 shown]
	s_mov_b32 s15, 0x400385bd
	v_add_f64 v[10:11], v[10:11], s[14:15]
	s_mov_b32 s14, 0x652b82fe
	s_mov_b32 s15, 0xbff71547
	v_mul_f64 v[14:15], v[6:7], s[14:15]
	s_mov_b32 s14, 0xfefa39ef
	v_rndne_f64_e32 v[14:15], v[14:15]
	s_mov_b32 s15, 0xbfe62e42
	v_fma_f64 v[18:19], v[14:15], s[14:15], -v[6:7]
	s_mov_b32 s14, 0x3b39803f
	s_mov_b32 s15, 0xbc7abc9e
	v_fmac_f64_e32 v[18:19], s[14:15], v[14:15]
	s_mov_b32 s14, 0x6a5dcb37
	s_mov_b32 s15, 0x3e5ade15
	v_fmac_f64_e32 v[20:21], s[14:15], v[18:19]
	v_mov_b32_e32 v23, 0x3ec71dee
	v_fmac_f64_e32 v[22:23], v[18:19], v[20:21]
	v_mov_b32_e32 v20, 0x7c89e6b0
	v_mov_b32_e32 v21, 0x3efa0199
	v_fmac_f64_e32 v[20:21], v[18:19], v[22:23]
	v_mov_b32_e32 v22, 0x14761f6e
	;; [unrolled: 3-line block ×7, first 2 shown]
	v_mov_b32_e32 v21, 0x3fe00000
	v_fmac_f64_e32 v[20:21], v[18:19], v[22:23]
	s_mov_b32 s14, 0
	v_fma_f64 v[20:21], v[18:19], v[20:21], 1.0
	s_mov_b32 s15, 0x4090cc00
	v_fma_f64 v[18:19], v[18:19], v[20:21], 1.0
	v_cvt_i32_f64_e32 v14, v[14:15]
	v_cmp_nlt_f64_e32 vcc, s[14:15], v[6:7]
	s_mov_b32 s14, 0
	v_ldexp_f64 v[14:15], v[18:19], v14
	s_brev_b32 s15, 8
	v_cndmask_b32_e32 v15, 0, v15, vcc
	v_cndmask_b32_e32 v14, 0, v14, vcc
	v_cmp_gt_f64_e32 vcc, s[14:15], v[6:7]
	v_cndmask_b32_e64 v18, 0, 1, vcc
	v_lshlrev_b32_e32 v18, 8, v18
	v_ldexp_f64 v[6:7], v[6:7], v18
	v_rsq_f64_e32 v[18:19], v[6:7]
	v_add_f64 v[10:11], v[10:11], -v[16:17]
	v_mul_f64 v[10:11], v[10:11], 0.5
	v_mul_f64 v[10:11], v[14:15], v[10:11]
	v_mul_f64 v[14:15], v[6:7], v[18:19]
	v_mul_f64 v[16:17], v[18:19], 0.5
	v_fma_f64 v[18:19], -v[16:17], v[14:15], 0.5
	v_fmac_f64_e32 v[14:15], v[14:15], v[18:19]
	v_fma_f64 v[20:21], -v[14:15], v[14:15], v[6:7]
	v_fmac_f64_e32 v[16:17], v[16:17], v[18:19]
	v_fmac_f64_e32 v[14:15], v[20:21], v[16:17]
	v_fma_f64 v[18:19], -v[14:15], v[14:15], v[6:7]
	v_fmac_f64_e32 v[14:15], v[18:19], v[16:17]
	v_mov_b32_e32 v16, 0xffffff80
	v_cndmask_b32_e32 v16, 0, v16, vcc
	v_ldexp_f64 v[14:15], v[14:15], v16
	v_mov_b32_e32 v16, 0x260
	v_cmp_class_f64_e32 vcc, v[6:7], v16
	v_cndmask_b32_e32 v7, v15, v7, vcc
	v_cndmask_b32_e32 v6, v14, v6, vcc
	v_div_scale_f64 v[14:15], s[14:15], v[6:7], v[6:7], v[10:11]
	v_rcp_f64_e32 v[16:17], v[14:15]
	v_fma_f64 v[18:19], -v[14:15], v[16:17], 1.0
	v_fmac_f64_e32 v[16:17], v[16:17], v[18:19]
	v_fma_f64 v[18:19], -v[14:15], v[16:17], 1.0
	v_fmac_f64_e32 v[16:17], v[16:17], v[18:19]
	v_div_scale_f64 v[18:19], vcc, v[10:11], v[6:7], v[10:11]
	v_mul_f64 v[20:21], v[18:19], v[16:17]
	v_fma_f64 v[14:15], -v[14:15], v[20:21], v[18:19]
	s_nop 1
	v_div_fmas_f64 v[14:15], v[14:15], v[16:17], v[20:21]
	v_div_fixup_f64 v[10:11], v[14:15], v[6:7], v[10:11]
.LBB5_37:
	s_or_b64 exec, exec, s[12:13]
.LBB5_38:
	s_or_b64 exec, exec, s[10:11]
.LBB5_39:
	s_or_b64 exec, exec, s[6:7]
	s_mov_b64 s[6:7], 0
	v_cmp_neq_f64_e32 vcc, 0, v[8:9]
	s_and_saveexec_b64 s[10:11], vcc
	s_cbranch_execz .LBB5_51
; %bb.40:
	v_mov_b32_e32 v12, 0
	v_cmp_ngt_f64_e32 vcc, 0, v[8:9]
	v_mov_b32_e32 v13, 0x7ff80000
	s_and_saveexec_b64 s[12:13], vcc
	s_cbranch_execz .LBB5_50
; %bb.41:
	v_cmp_ge_f64_e32 vcc, 2.0, v[8:9]
	s_and_saveexec_b64 s[14:15], vcc
	s_xor_b64 s[14:15], exec, s[14:15]
	s_cbranch_execz .LBB5_47
; %bb.42:
	s_mov_b32 s20, 0
	s_mov_b32 s21, 0x40200000
	v_mul_f64 v[6:7], v[8:9], 0.5
	v_cmp_ge_f64_e32 vcc, s[20:21], v[8:9]
                                        ; implicit-def: $vgpr12_vgpr13
	s_and_saveexec_b64 s[20:21], vcc
	s_xor_b64 s[20:21], exec, s[20:21]
	s_cbranch_execz .LBB5_44
; %bb.43:
	s_mov_b32 s22, 0x2134d0ef
	v_add_f64 v[12:13], v[6:7], -2.0
	v_mov_b32_e32 v14, 0x977da589
	v_mov_b32_e32 v15, 0x3c833362
	s_mov_b32 s23, 0xbc545cb7
	v_fmac_f64_e32 v[14:15], s[22:23], v[12:13]
	v_mov_b32_e32 v16, 0x2134d0ef
	v_mov_b32_e32 v17, 0x3c545cb7
	s_mov_b32 s22, 0x721ebbb4
	v_fmac_f64_e32 v[16:17], v[12:13], v[14:15]
	s_mov_b32 s23, 0xbcb184eb
	v_add_f64 v[16:17], v[16:17], s[22:23]
	s_mov_b32 s22, 0x93f65eba
	v_fma_f64 v[14:15], v[12:13], v[16:17], -v[14:15]
	s_mov_b32 s23, 0x3cdee6d8
	v_add_f64 v[14:15], v[14:15], s[22:23]
	s_mov_b32 s22, 0xc297fbeb
	v_fma_f64 v[16:17], v[12:13], v[14:15], -v[16:17]
	;; [unrolled: 4-line block ×27, first 2 shown]
	s_mov_b32 s23, 0x3fe5a84e
	v_add_f64 v[12:13], v[12:13], s[22:23]
	s_mov_b32 s22, 0x652b82fe
	s_mov_b32 s23, 0x3ff71547
	v_mul_f64 v[16:17], v[8:9], s[22:23]
	s_mov_b32 s22, 0xfefa39ef
	v_rndne_f64_e32 v[16:17], v[16:17]
	s_mov_b32 s23, 0xbfe62e42
	v_fma_f64 v[18:19], s[22:23], v[16:17], v[8:9]
	s_mov_b32 s22, 0x3b39803f
	s_mov_b32 s23, 0xbc7abc9e
	v_fmac_f64_e32 v[18:19], s[22:23], v[16:17]
	s_mov_b32 s22, 0x6a5dcb37
	v_mov_b32_e32 v20, 0xfca7ab0c
	v_mov_b32_e32 v21, 0x3e928af3
	s_mov_b32 s23, 0x3e5ade15
	v_fmac_f64_e32 v[20:21], s[22:23], v[18:19]
	v_mov_b32_e32 v22, 0x623fde64
	v_mov_b32_e32 v23, 0x3ec71dee
	v_fmac_f64_e32 v[22:23], v[18:19], v[20:21]
	v_mov_b32_e32 v20, 0x7c89e6b0
	v_mov_b32_e32 v21, 0x3efa0199
	;; [unrolled: 3-line block ×8, first 2 shown]
	v_fmac_f64_e32 v[20:21], v[18:19], v[22:23]
	v_fma_f64 v[20:21], v[18:19], v[20:21], 1.0
	s_mov_b32 s22, 0
	v_fma_f64 v[18:19], v[18:19], v[20:21], 1.0
	v_cvt_i32_f64_e32 v16, v[16:17]
	s_mov_b32 s23, 0x40900000
	v_ldexp_f64 v[16:17], v[18:19], v16
	v_mov_b32_e32 v18, 0x7ff00000
	v_cmp_nlt_f64_e32 vcc, s[22:23], v[8:9]
	v_add_f64 v[12:13], v[12:13], -v[14:15]
	v_cndmask_b32_e32 v17, v18, v17, vcc
	v_cndmask_b32_e32 v16, 0, v16, vcc
	v_mul_f64 v[12:13], v[12:13], 0.5
	v_mul_f64 v[12:13], v[16:17], v[12:13]
.LBB5_44:
	s_andn2_saveexec_b64 s[20:21], s[20:21]
	s_cbranch_execz .LBB5_46
; %bb.45:
	s_mov_b32 s22, 0
	s_mov_b32 s23, 0x40400000
	v_div_scale_f64 v[12:13], s[24:25], v[8:9], v[8:9], s[22:23]
	v_rcp_f64_e32 v[14:15], v[12:13]
	v_mov_b32_e32 v20, 0xfca7ab0c
	v_mov_b32_e32 v21, 0x3e928af3
	;; [unrolled: 1-line block ×3, first 2 shown]
	v_fma_f64 v[16:17], -v[12:13], v[14:15], 1.0
	v_fmac_f64_e32 v[14:15], v[14:15], v[16:17]
	v_fma_f64 v[16:17], -v[12:13], v[14:15], 1.0
	v_fmac_f64_e32 v[14:15], v[14:15], v[16:17]
	v_div_scale_f64 v[16:17], vcc, s[22:23], v[8:9], s[22:23]
	v_mul_f64 v[18:19], v[16:17], v[14:15]
	v_fma_f64 v[12:13], -v[12:13], v[18:19], v[16:17]
	v_mov_b32_e32 v16, 0x54ca8b19
	s_nop 0
	v_div_fmas_f64 v[12:13], v[12:13], v[14:15], v[18:19]
	v_div_fixup_f64 v[12:13], v[12:13], v[8:9], s[22:23]
	s_mov_b32 s22, 0x54ca8b19
	v_add_f64 v[12:13], v[12:13], -2.0
	v_mov_b32_e32 v14, 0x66119130
	v_mov_b32_e32 v15, 0xbc5646da
	s_mov_b32 s23, 0xbc60adb7
	v_fmac_f64_e32 v[14:15], s[22:23], v[12:13]
	v_mov_b32_e32 v17, 0x3c60adb7
	s_mov_b32 s22, 0x12d98421
	v_fmac_f64_e32 v[16:17], v[12:13], v[14:15]
	s_mov_b32 s23, 0x3c89be18
	v_add_f64 v[16:17], v[16:17], s[22:23]
	s_mov_b32 s22, 0x76041cd
	v_fma_f64 v[14:15], v[12:13], v[16:17], -v[14:15]
	s_mov_b32 s23, 0x3c83f3dd
	v_add_f64 v[14:15], v[14:15], s[22:23]
	s_mov_b32 s22, 0xabd21fe4
	v_fma_f64 v[16:17], v[12:13], v[14:15], -v[16:17]
	;; [unrolled: 4-line block ×22, first 2 shown]
	s_mov_b32 s23, 0x3fe9be62
	v_add_f64 v[12:13], v[12:13], s[22:23]
	s_mov_b32 s22, 0x652b82fe
	s_mov_b32 s23, 0x3ff71547
	v_mul_f64 v[14:15], v[8:9], s[22:23]
	s_mov_b32 s22, 0xfefa39ef
	v_rndne_f64_e32 v[14:15], v[14:15]
	s_mov_b32 s23, 0xbfe62e42
	v_fma_f64 v[18:19], s[22:23], v[14:15], v[8:9]
	s_mov_b32 s22, 0x3b39803f
	s_mov_b32 s23, 0xbc7abc9e
	v_fmac_f64_e32 v[18:19], s[22:23], v[14:15]
	s_mov_b32 s22, 0x6a5dcb37
	s_mov_b32 s23, 0x3e5ade15
	v_fmac_f64_e32 v[20:21], s[22:23], v[18:19]
	v_mov_b32_e32 v23, 0x3ec71dee
	v_fmac_f64_e32 v[22:23], v[18:19], v[20:21]
	v_mov_b32_e32 v20, 0x7c89e6b0
	v_mov_b32_e32 v21, 0x3efa0199
	v_fmac_f64_e32 v[20:21], v[18:19], v[22:23]
	v_mov_b32_e32 v22, 0x14761f6e
	;; [unrolled: 3-line block ×7, first 2 shown]
	v_mov_b32_e32 v21, 0x3fe00000
	v_fmac_f64_e32 v[20:21], v[18:19], v[22:23]
	s_mov_b32 s22, 0
	v_fma_f64 v[20:21], v[18:19], v[20:21], 1.0
	s_mov_b32 s23, 0x40900000
	v_fma_f64 v[18:19], v[18:19], v[20:21], 1.0
	v_cvt_i32_f64_e32 v14, v[14:15]
	v_cmp_nlt_f64_e32 vcc, s[22:23], v[8:9]
	s_mov_b32 s22, 0
	v_ldexp_f64 v[14:15], v[18:19], v14
	v_mov_b32_e32 v18, 0x7ff00000
	s_brev_b32 s23, 8
	v_cndmask_b32_e32 v15, v18, v15, vcc
	v_cndmask_b32_e32 v14, 0, v14, vcc
	v_cmp_gt_f64_e32 vcc, s[22:23], v[8:9]
	v_cndmask_b32_e64 v18, 0, 1, vcc
	v_lshlrev_b32_e32 v18, 8, v18
	v_ldexp_f64 v[18:19], v[8:9], v18
	v_rsq_f64_e32 v[20:21], v[18:19]
	v_add_f64 v[12:13], v[12:13], -v[16:17]
	v_mul_f64 v[12:13], v[12:13], 0.5
	v_mul_f64 v[12:13], v[14:15], v[12:13]
	v_mul_f64 v[14:15], v[18:19], v[20:21]
	v_mul_f64 v[16:17], v[20:21], 0.5
	v_fma_f64 v[20:21], -v[16:17], v[14:15], 0.5
	v_fmac_f64_e32 v[14:15], v[14:15], v[20:21]
	v_fma_f64 v[22:23], -v[14:15], v[14:15], v[18:19]
	v_fmac_f64_e32 v[16:17], v[16:17], v[20:21]
	v_fmac_f64_e32 v[14:15], v[22:23], v[16:17]
	v_fma_f64 v[20:21], -v[14:15], v[14:15], v[18:19]
	v_fmac_f64_e32 v[14:15], v[20:21], v[16:17]
	v_mov_b32_e32 v16, 0xffffff80
	v_cndmask_b32_e32 v16, 0, v16, vcc
	v_ldexp_f64 v[14:15], v[14:15], v16
	v_mov_b32_e32 v16, 0x260
	v_cmp_class_f64_e32 vcc, v[18:19], v16
	v_cndmask_b32_e32 v15, v15, v19, vcc
	v_cndmask_b32_e32 v14, v14, v18, vcc
	v_div_scale_f64 v[16:17], s[22:23], v[14:15], v[14:15], v[12:13]
	v_rcp_f64_e32 v[18:19], v[16:17]
	v_fma_f64 v[20:21], -v[16:17], v[18:19], 1.0
	v_fmac_f64_e32 v[18:19], v[18:19], v[20:21]
	v_fma_f64 v[20:21], -v[16:17], v[18:19], 1.0
	v_fmac_f64_e32 v[18:19], v[18:19], v[20:21]
	v_div_scale_f64 v[20:21], vcc, v[12:13], v[14:15], v[12:13]
	v_mul_f64 v[22:23], v[20:21], v[18:19]
	v_fma_f64 v[16:17], -v[16:17], v[22:23], v[20:21]
	s_nop 1
	v_div_fmas_f64 v[16:17], v[16:17], v[18:19], v[22:23]
	v_div_fixup_f64 v[12:13], v[16:17], v[14:15], v[12:13]
.LBB5_46:
	s_or_b64 exec, exec, s[20:21]
	s_mov_b32 s20, 0xe6a7fd77
	v_fma_f64 v[8:9], v[8:9], v[8:9], -2.0
	v_mov_b32_e32 v14, 0xc384c2aa
	v_mov_b32_e32 v15, 0x3d27fb0a
	s_mov_b32 s21, 0x3ca3cee1
	v_fmac_f64_e32 v[14:15], s[20:21], v[8:9]
	v_mov_b32_e32 v16, 0xe6a7fd77
	v_mov_b32_e32 v17, 0xbca3cee1
	s_mov_b32 s20, 0x47512144
	v_fmac_f64_e32 v[16:17], v[8:9], v[14:15]
	s_mov_b32 s21, 0x3da6c25c
	v_add_f64 v[16:17], v[16:17], s[20:21]
	s_mov_b32 s20, 0x67e58a13
	v_fma_f64 v[14:15], v[8:9], v[16:17], -v[14:15]
	s_mov_b32 s21, 0x3e205c13
	v_add_f64 v[14:15], v[14:15], s[20:21]
	s_mov_b32 s20, 0xe7f95efc
	v_fma_f64 v[16:17], v[8:9], v[14:15], -v[16:17]
	;; [unrolled: 4-line block ×7, first 2 shown]
	s_mov_b32 s21, 0xbfe12166
	v_add_f64 v[8:9], v[8:9], s[20:21]
	s_mov_b32 s20, 0x55555555
	v_add_f64 v[8:9], v[8:9], -v[14:15]
	v_frexp_mant_f64_e32 v[14:15], v[6:7]
	s_mov_b32 s21, 0x3fe55555
	v_mov_b32_e32 v16, 0x3ff00000
	v_cmp_gt_f64_e32 vcc, s[20:21], v[14:15]
	v_cndmask_b32_e64 v17, v16, 2.0, vcc
	v_mov_b32_e32 v16, 0
	v_mul_f64 v[14:15], v[14:15], v[16:17]
	v_frexp_exp_i32_f64_e32 v18, v[6:7]
	v_add_f64 v[16:17], v[14:15], 1.0
	v_subbrev_co_u32_e32 v28, vcc, 0, v18, vcc
	v_rcp_f64_e32 v[18:19], v[16:17]
	v_add_f64 v[22:23], v[16:17], -1.0
	v_add_f64 v[20:21], v[14:15], -1.0
	v_add_f64 v[14:15], v[14:15], -v[22:23]
	v_fma_f64 v[22:23], -v[16:17], v[18:19], 1.0
	v_fmac_f64_e32 v[18:19], v[22:23], v[18:19]
	v_fma_f64 v[22:23], -v[16:17], v[18:19], 1.0
	v_fmac_f64_e32 v[18:19], v[22:23], v[18:19]
	v_mul_f64 v[22:23], v[20:21], v[18:19]
	v_mul_f64 v[24:25], v[16:17], v[22:23]
	v_fma_f64 v[16:17], v[22:23], v[16:17], -v[24:25]
	v_fmac_f64_e32 v[16:17], v[22:23], v[14:15]
	v_add_f64 v[14:15], v[24:25], v[16:17]
	v_add_f64 v[26:27], v[20:21], -v[14:15]
	v_add_f64 v[24:25], v[14:15], -v[24:25]
	;; [unrolled: 1-line block ×5, first 2 shown]
	v_add_f64 v[14:15], v[16:17], v[14:15]
	v_add_f64 v[14:15], v[26:27], v[14:15]
	v_mul_f64 v[14:15], v[18:19], v[14:15]
	v_add_f64 v[16:17], v[22:23], v[14:15]
	v_add_f64 v[18:19], v[16:17], -v[22:23]
	s_mov_b32 s20, 0xbf559e2b
	v_add_f64 v[14:15], v[14:15], -v[18:19]
	v_mul_f64 v[18:19], v[16:17], v[16:17]
	v_mov_b32_e32 v20, 0x6b47b09a
	v_mov_b32_e32 v21, 0x3fc38538
	s_mov_b32 s21, 0x3fc3ab76
	v_fmac_f64_e32 v[20:21], s[20:21], v[18:19]
	v_mov_b32_e32 v22, 0xd7f4df2e
	v_mov_b32_e32 v23, 0x3fc7474d
	v_fmac_f64_e32 v[22:23], v[18:19], v[20:21]
	v_mov_b32_e32 v20, 0x16291751
	v_mov_b32_e32 v21, 0x3fcc71c0
	;; [unrolled: 3-line block ×5, first 2 shown]
	v_fmac_f64_e32 v[22:23], v[18:19], v[20:21]
	v_ldexp_f64 v[20:21], v[16:17], 1
	v_mul_f64 v[16:17], v[16:17], v[18:19]
	v_mul_f64 v[16:17], v[16:17], v[22:23]
	v_add_f64 v[18:19], v[20:21], v[16:17]
	v_add_f64 v[20:21], v[18:19], -v[20:21]
	v_ldexp_f64 v[14:15], v[14:15], 1
	v_add_f64 v[16:17], v[16:17], -v[20:21]
	v_add_f64 v[14:15], v[14:15], v[16:17]
	v_add_f64 v[16:17], v[18:19], v[14:15]
	v_add_f64 v[18:19], v[16:17], -v[18:19]
	s_mov_b32 s20, 0xfefa39ef
	v_add_f64 v[14:15], v[14:15], -v[18:19]
	v_cvt_f64_i32_e32 v[18:19], v28
	s_mov_b32 s21, 0x3fe62e42
	v_mul_f64 v[20:21], v[18:19], s[20:21]
	v_fma_f64 v[22:23], v[18:19], s[20:21], -v[20:21]
	s_mov_b32 s20, 0x3b39803f
	s_mov_b32 s21, 0x3c7abc9e
	v_fmac_f64_e32 v[22:23], s[20:21], v[18:19]
	v_add_f64 v[18:19], v[20:21], v[22:23]
	v_add_f64 v[20:21], v[18:19], -v[20:21]
	v_add_f64 v[20:21], v[22:23], -v[20:21]
	v_add_f64 v[22:23], v[18:19], v[16:17]
	v_add_f64 v[24:25], v[22:23], -v[18:19]
	v_add_f64 v[26:27], v[22:23], -v[24:25]
	;; [unrolled: 1-line block ×4, first 2 shown]
	v_add_f64 v[16:17], v[16:17], v[18:19]
	v_add_f64 v[18:19], v[20:21], v[14:15]
	v_add_f64 v[24:25], v[18:19], -v[20:21]
	v_add_f64 v[26:27], v[18:19], -v[24:25]
	v_add_f64 v[16:17], v[18:19], v[16:17]
	v_add_f64 v[20:21], v[20:21], -v[26:27]
	v_add_f64 v[14:15], v[14:15], -v[24:25]
	v_add_f64 v[18:19], v[22:23], v[16:17]
	v_add_f64 v[14:15], v[14:15], v[20:21]
	v_add_f64 v[20:21], v[18:19], -v[22:23]
	v_add_f64 v[16:17], v[16:17], -v[20:21]
	s_mov_b32 s20, 0
	v_add_f64 v[14:15], v[14:15], v[16:17]
	s_mov_b32 s21, 0x7ff00000
	v_add_f64 v[14:15], v[18:19], v[14:15]
	v_cmp_eq_f64_e32 vcc, s[20:21], v[6:7]
	v_cndmask_b32_e32 v14, v14, v6, vcc
	v_cndmask_b32_e32 v15, v15, v7, vcc
	v_mov_b32_e32 v16, 0xfff00000
	v_cmp_neq_f64_e32 vcc, 0, v[6:7]
	v_cndmask_b32_e32 v7, v16, v15, vcc
	v_cndmask_b32_e32 v6, 0, v14, vcc
	v_mul_f64 v[6:7], v[6:7], v[12:13]
	v_fma_f64 v[12:13], v[8:9], 0.5, -v[6:7]
                                        ; implicit-def: $vgpr8_vgpr9
.LBB5_47:
	s_andn2_saveexec_b64 s[14:15], s[14:15]
	s_cbranch_execz .LBB5_49
; %bb.48:
	s_mov_b32 s20, 0
	s_mov_b32 s21, 0x40200000
	v_div_scale_f64 v[6:7], s[22:23], v[8:9], v[8:9], s[20:21]
	v_rcp_f64_e32 v[12:13], v[6:7]
	v_mov_b32_e32 v18, 0xfca7ab0c
	v_mov_b32_e32 v19, 0x3e928af3
	;; [unrolled: 1-line block ×3, first 2 shown]
	v_fma_f64 v[14:15], -v[6:7], v[12:13], 1.0
	v_fmac_f64_e32 v[12:13], v[12:13], v[14:15]
	v_fma_f64 v[14:15], -v[6:7], v[12:13], 1.0
	v_fmac_f64_e32 v[12:13], v[12:13], v[14:15]
	v_div_scale_f64 v[14:15], vcc, s[20:21], v[8:9], s[20:21]
	v_mul_f64 v[16:17], v[14:15], v[12:13]
	v_fma_f64 v[6:7], -v[6:7], v[16:17], v[14:15]
	v_mov_b32_e32 v14, 0xcf8c9ee1
	s_nop 0
	v_div_fmas_f64 v[6:7], v[6:7], v[12:13], v[16:17]
	v_div_fixup_f64 v[6:7], v[6:7], v[8:9], s[20:21]
	s_mov_b32 s20, 0xcf8c9ee1
	v_add_f64 v[6:7], v[6:7], -2.0
	v_mov_b32_e32 v12, 0x93812603
	v_mov_b32_e32 v13, 0xbc72fecc
	s_mov_b32 s21, 0x3c5871a5
	v_fmac_f64_e32 v[12:13], s[20:21], v[6:7]
	v_mov_b32_e32 v15, 0xbc5871a5
	s_mov_b32 s20, 0x41a8cdf4
	v_fmac_f64_e32 v[14:15], v[6:7], v[12:13]
	s_mov_b32 s21, 0x3c8e092e
	v_add_f64 v[14:15], v[14:15], s[20:21]
	s_mov_b32 s20, 0x74d77641
	v_fma_f64 v[12:13], v[6:7], v[14:15], -v[12:13]
	s_mov_b32 s21, 0xbca82f94
	v_add_f64 v[12:13], v[12:13], s[20:21]
	s_mov_b32 s20, 0x6b94785b
	v_fma_f64 v[14:15], v[6:7], v[12:13], -v[14:15]
	s_mov_b32 s21, 0x3cc3dbf9
	v_add_f64 v[14:15], v[14:15], s[20:21]
	s_mov_b32 s20, 0xecfadd36
	v_fma_f64 v[12:13], v[6:7], v[14:15], -v[12:13]
	s_mov_b32 s21, 0xbce0a690
	v_add_f64 v[12:13], v[12:13], s[20:21]
	s_mov_b32 s20, 0x4a7ddc98
	v_fma_f64 v[14:15], v[6:7], v[12:13], -v[14:15]
	s_mov_b32 s21, 0x3cfc8d9c
	v_add_f64 v[14:15], v[14:15], s[20:21]
	s_mov_b32 s20, 0xbb056fc2
	v_fma_f64 v[12:13], v[6:7], v[14:15], -v[12:13]
	s_mov_b32 s21, 0xbd19145e
	v_add_f64 v[12:13], v[12:13], s[20:21]
	s_mov_b32 s20, 0xcd94cfe2
	v_fma_f64 v[14:15], v[6:7], v[12:13], -v[14:15]
	s_mov_b32 s21, 0x3d369c4e
	v_add_f64 v[14:15], v[14:15], s[20:21]
	s_mov_b32 s20, 0x21a470d1
	v_fma_f64 v[12:13], v[6:7], v[14:15], -v[12:13]
	s_mov_b32 s21, 0xbd54f877
	v_add_f64 v[12:13], v[12:13], s[20:21]
	s_mov_b32 s20, 0x2fccfc25
	v_fma_f64 v[14:15], v[6:7], v[12:13], -v[14:15]
	s_mov_b32 s21, 0x3d740fa3
	v_add_f64 v[14:15], v[14:15], s[20:21]
	s_mov_b32 s20, 0x3f005143
	v_fma_f64 v[12:13], v[6:7], v[14:15], -v[12:13]
	s_mov_b32 s21, 0xbd93dafc
	v_add_f64 v[12:13], v[12:13], s[20:21]
	s_mov_b32 s20, 0x475fbcc7
	v_fma_f64 v[14:15], v[6:7], v[12:13], -v[14:15]
	s_mov_b32 s21, 0x3db46808
	v_add_f64 v[14:15], v[14:15], s[20:21]
	s_mov_b32 s20, 0xd2e7c935
	v_fma_f64 v[12:13], v[6:7], v[14:15], -v[12:13]
	s_mov_b32 s21, 0xbdd5df95
	v_add_f64 v[12:13], v[12:13], s[20:21]
	s_mov_b32 s20, 0x819ff608
	v_fma_f64 v[14:15], v[6:7], v[12:13], -v[14:15]
	s_mov_b32 s21, 0x3df8956c
	v_add_f64 v[14:15], v[14:15], s[20:21]
	s_mov_b32 s20, 0xf22bf5db
	v_fma_f64 v[12:13], v[6:7], v[14:15], -v[12:13]
	s_mov_b32 s21, 0xbe1d29d5
	v_add_f64 v[12:13], v[12:13], s[20:21]
	s_mov_b32 s20, 0x33f428e
	v_fma_f64 v[14:15], v[6:7], v[12:13], -v[14:15]
	s_mov_b32 s21, 0x3e4269a0
	v_add_f64 v[14:15], v[14:15], s[20:21]
	s_mov_b32 s20, 0x1b54f2af
	v_fma_f64 v[12:13], v[6:7], v[14:15], -v[12:13]
	s_mov_b32 s21, 0xbe690554
	v_add_f64 v[12:13], v[12:13], s[20:21]
	s_mov_b32 s20, 0x81e3e46f
	v_fma_f64 v[14:15], v[6:7], v[12:13], -v[14:15]
	s_mov_b32 s21, 0x3e929159
	v_add_f64 v[14:15], v[14:15], s[20:21]
	s_mov_b32 s20, 0x7f18d3a9
	v_fma_f64 v[12:13], v[6:7], v[14:15], -v[12:13]
	s_mov_b32 s21, 0xbebebb54
	v_add_f64 v[12:13], v[12:13], s[20:21]
	s_mov_b32 s20, 0xcc7470a9
	v_fma_f64 v[14:15], v[6:7], v[12:13], -v[14:15]
	s_mov_b32 s21, 0x3eed413f
	v_add_f64 v[14:15], v[14:15], s[20:21]
	s_mov_b32 s20, 0xe7889f42
	v_fma_f64 v[12:13], v[6:7], v[14:15], -v[12:13]
	s_mov_b32 s21, 0xbf20d797
	v_add_f64 v[12:13], v[12:13], s[20:21]
	s_mov_b32 s20, 0xfca79342
	v_fma_f64 v[14:15], v[6:7], v[12:13], -v[14:15]
	s_mov_b32 s21, 0x3f59b891
	v_add_f64 v[14:15], v[14:15], s[20:21]
	s_mov_b32 s20, 0x2d4ff71e
	v_fma_f64 v[12:13], v[6:7], v[14:15], -v[12:13]
	s_mov_b32 s21, 0xbfa019f7
	v_add_f64 v[12:13], v[12:13], s[20:21]
	s_mov_b32 s20, 0x9f4e6907
	v_fma_f64 v[6:7], v[6:7], v[12:13], -v[14:15]
	s_mov_b32 s21, 0x400385bd
	v_add_f64 v[6:7], v[6:7], s[20:21]
	s_mov_b32 s20, 0x652b82fe
	s_mov_b32 s21, 0xbff71547
	v_mul_f64 v[12:13], v[8:9], s[20:21]
	s_mov_b32 s20, 0xfefa39ef
	v_rndne_f64_e32 v[12:13], v[12:13]
	s_mov_b32 s21, 0xbfe62e42
	v_fma_f64 v[16:17], v[12:13], s[20:21], -v[8:9]
	s_mov_b32 s20, 0x3b39803f
	s_mov_b32 s21, 0xbc7abc9e
	v_fmac_f64_e32 v[16:17], s[20:21], v[12:13]
	s_mov_b32 s20, 0x6a5dcb37
	s_mov_b32 s21, 0x3e5ade15
	v_fmac_f64_e32 v[18:19], s[20:21], v[16:17]
	v_mov_b32_e32 v21, 0x3ec71dee
	v_fmac_f64_e32 v[20:21], v[16:17], v[18:19]
	v_mov_b32_e32 v18, 0x7c89e6b0
	v_mov_b32_e32 v19, 0x3efa0199
	v_fmac_f64_e32 v[18:19], v[16:17], v[20:21]
	v_mov_b32_e32 v20, 0x14761f6e
	;; [unrolled: 3-line block ×7, first 2 shown]
	v_mov_b32_e32 v19, 0x3fe00000
	v_fmac_f64_e32 v[18:19], v[16:17], v[20:21]
	s_mov_b32 s20, 0
	v_fma_f64 v[18:19], v[16:17], v[18:19], 1.0
	s_mov_b32 s21, 0x4090cc00
	v_fma_f64 v[16:17], v[16:17], v[18:19], 1.0
	v_cvt_i32_f64_e32 v12, v[12:13]
	v_cmp_nlt_f64_e32 vcc, s[20:21], v[8:9]
	s_mov_b32 s20, 0
	v_ldexp_f64 v[12:13], v[16:17], v12
	s_brev_b32 s21, 8
	v_cndmask_b32_e32 v13, 0, v13, vcc
	v_cndmask_b32_e32 v12, 0, v12, vcc
	v_cmp_gt_f64_e32 vcc, s[20:21], v[8:9]
	v_cndmask_b32_e64 v16, 0, 1, vcc
	v_lshlrev_b32_e32 v16, 8, v16
	v_ldexp_f64 v[8:9], v[8:9], v16
	v_rsq_f64_e32 v[16:17], v[8:9]
	v_add_f64 v[6:7], v[6:7], -v[14:15]
	v_mul_f64 v[6:7], v[6:7], 0.5
	v_mul_f64 v[6:7], v[12:13], v[6:7]
	v_mul_f64 v[12:13], v[8:9], v[16:17]
	v_mul_f64 v[14:15], v[16:17], 0.5
	v_fma_f64 v[16:17], -v[14:15], v[12:13], 0.5
	v_fmac_f64_e32 v[12:13], v[12:13], v[16:17]
	v_fma_f64 v[18:19], -v[12:13], v[12:13], v[8:9]
	v_fmac_f64_e32 v[14:15], v[14:15], v[16:17]
	v_fmac_f64_e32 v[12:13], v[18:19], v[14:15]
	v_fma_f64 v[16:17], -v[12:13], v[12:13], v[8:9]
	v_fmac_f64_e32 v[12:13], v[16:17], v[14:15]
	v_mov_b32_e32 v14, 0xffffff80
	v_cndmask_b32_e32 v14, 0, v14, vcc
	v_ldexp_f64 v[12:13], v[12:13], v14
	v_mov_b32_e32 v14, 0x260
	v_cmp_class_f64_e32 vcc, v[8:9], v14
	v_cndmask_b32_e32 v9, v13, v9, vcc
	v_cndmask_b32_e32 v8, v12, v8, vcc
	v_div_scale_f64 v[12:13], s[20:21], v[8:9], v[8:9], v[6:7]
	v_rcp_f64_e32 v[14:15], v[12:13]
	v_fma_f64 v[16:17], -v[12:13], v[14:15], 1.0
	v_fmac_f64_e32 v[14:15], v[14:15], v[16:17]
	v_fma_f64 v[16:17], -v[12:13], v[14:15], 1.0
	v_fmac_f64_e32 v[14:15], v[14:15], v[16:17]
	v_div_scale_f64 v[16:17], vcc, v[6:7], v[8:9], v[6:7]
	v_mul_f64 v[18:19], v[16:17], v[14:15]
	v_fma_f64 v[12:13], -v[12:13], v[18:19], v[16:17]
	s_nop 1
	v_div_fmas_f64 v[12:13], v[12:13], v[14:15], v[18:19]
	v_div_fixup_f64 v[12:13], v[12:13], v[8:9], v[6:7]
.LBB5_49:
	s_or_b64 exec, exec, s[14:15]
.LBB5_50:
	s_or_b64 exec, exec, s[12:13]
.LBB5_51:
	s_or_b64 exec, exec, s[10:11]
	s_add_u32 s4, s16, s4
	s_addc_u32 s5, s17, s5
	v_mov_b32_e32 v6, s5
	v_add_co_u32_e32 v7, vcc, s4, v1
	v_addc_co_u32_e32 v6, vcc, 0, v6, vcc
	global_store_dwordx4 v1, v[2:5], s[4:5]
	s_nop 0
	v_add_co_u32_e32 v2, vcc, 0x1000, v7
	v_addc_co_u32_e32 v3, vcc, 0, v6, vcc
	global_store_dwordx4 v[2:3], v[10:13], off
	s_and_b64 vcc, exec, s[6:7]
	s_cbranch_vccz .LBB5_2
.LBB5_52:
	s_mov_b32 s12, s8
	v_mov_b32_e32 v31, v0
	v_mov_b32_e32 v0, s16
	;; [unrolled: 1-line block ×6, first 2 shown]
	s_getpc_b64 s[4:5]
	s_add_u32 s4, s4, _ZN2at6native25elementwise_kernel_helperILb0EZZZNS0_12_GLOBAL__N_130modified_bessel_k0_kernel_cudaERNS_18TensorIteratorBaseEENKUlvE_clEvENKUlvE_clEvEUldE_NS0_6memory8policies11unroll_baseILi256ESt5arrayIPcLm2EE23TrivialOffsetCalculatorILi1EjESF_NS8_15LoadWithoutCastENS8_16StoreWithoutCastELi4ELi1EEEEEvT0_T1_@rel32@lo+4
	s_addc_u32 s5, s5, _ZN2at6native25elementwise_kernel_helperILb0EZZZNS0_12_GLOBAL__N_130modified_bessel_k0_kernel_cudaERNS_18TensorIteratorBaseEENKUlvE_clEvENKUlvE_clEvEUldE_NS0_6memory8policies11unroll_baseILi256ESt5arrayIPcLm2EE23TrivialOffsetCalculatorILi1EjESF_NS8_15LoadWithoutCastENS8_16StoreWithoutCastELi4ELi1EEEEEvT0_T1_@rel32@hi+12
	s_swappc_b64 s[30:31], s[4:5]
	s_endpgm
	.section	.rodata,"a",@progbits
	.p2align	6, 0x0
	.amdhsa_kernel _ZN2at6native29vectorized_elementwise_kernelILi2EZZZNS0_12_GLOBAL__N_130modified_bessel_k0_kernel_cudaERNS_18TensorIteratorBaseEENKUlvE_clEvENKUlvE_clEvEUldE_St5arrayIPcLm2EEEEviT0_T1_
		.amdhsa_group_segment_fixed_size 0
		.amdhsa_private_segment_fixed_size 0
		.amdhsa_kernarg_size 24
		.amdhsa_user_sgpr_count 8
		.amdhsa_user_sgpr_private_segment_buffer 1
		.amdhsa_user_sgpr_dispatch_ptr 0
		.amdhsa_user_sgpr_queue_ptr 0
		.amdhsa_user_sgpr_kernarg_segment_ptr 1
		.amdhsa_user_sgpr_dispatch_id 0
		.amdhsa_user_sgpr_flat_scratch_init 1
		.amdhsa_user_sgpr_kernarg_preload_length 0
		.amdhsa_user_sgpr_kernarg_preload_offset 0
		.amdhsa_user_sgpr_private_segment_size 0
		.amdhsa_uses_dynamic_stack 0
		.amdhsa_system_sgpr_private_segment_wavefront_offset 0
		.amdhsa_system_sgpr_workgroup_id_x 1
		.amdhsa_system_sgpr_workgroup_id_y 0
		.amdhsa_system_sgpr_workgroup_id_z 0
		.amdhsa_system_sgpr_workgroup_info 0
		.amdhsa_system_vgpr_workitem_id 0
		.amdhsa_next_free_vgpr 38
		.amdhsa_next_free_sgpr 33
		.amdhsa_accum_offset 40
		.amdhsa_reserve_vcc 1
		.amdhsa_reserve_flat_scratch 1
		.amdhsa_float_round_mode_32 0
		.amdhsa_float_round_mode_16_64 0
		.amdhsa_float_denorm_mode_32 3
		.amdhsa_float_denorm_mode_16_64 3
		.amdhsa_dx10_clamp 1
		.amdhsa_ieee_mode 1
		.amdhsa_fp16_overflow 0
		.amdhsa_tg_split 0
		.amdhsa_exception_fp_ieee_invalid_op 0
		.amdhsa_exception_fp_denorm_src 0
		.amdhsa_exception_fp_ieee_div_zero 0
		.amdhsa_exception_fp_ieee_overflow 0
		.amdhsa_exception_fp_ieee_underflow 0
		.amdhsa_exception_fp_ieee_inexact 0
		.amdhsa_exception_int_div_zero 0
	.end_amdhsa_kernel
	.section	.text._ZN2at6native29vectorized_elementwise_kernelILi2EZZZNS0_12_GLOBAL__N_130modified_bessel_k0_kernel_cudaERNS_18TensorIteratorBaseEENKUlvE_clEvENKUlvE_clEvEUldE_St5arrayIPcLm2EEEEviT0_T1_,"axG",@progbits,_ZN2at6native29vectorized_elementwise_kernelILi2EZZZNS0_12_GLOBAL__N_130modified_bessel_k0_kernel_cudaERNS_18TensorIteratorBaseEENKUlvE_clEvENKUlvE_clEvEUldE_St5arrayIPcLm2EEEEviT0_T1_,comdat
.Lfunc_end5:
	.size	_ZN2at6native29vectorized_elementwise_kernelILi2EZZZNS0_12_GLOBAL__N_130modified_bessel_k0_kernel_cudaERNS_18TensorIteratorBaseEENKUlvE_clEvENKUlvE_clEvEUldE_St5arrayIPcLm2EEEEviT0_T1_, .Lfunc_end5-_ZN2at6native29vectorized_elementwise_kernelILi2EZZZNS0_12_GLOBAL__N_130modified_bessel_k0_kernel_cudaERNS_18TensorIteratorBaseEENKUlvE_clEvENKUlvE_clEvEUldE_St5arrayIPcLm2EEEEviT0_T1_
                                        ; -- End function
	.section	.AMDGPU.csdata,"",@progbits
; Kernel info:
; codeLenInByte = 21820
; NumSgprs: 39
; NumVgprs: 38
; NumAgprs: 0
; TotalNumVgprs: 38
; ScratchSize: 0
; MemoryBound: 0
; FloatMode: 240
; IeeeMode: 1
; LDSByteSize: 0 bytes/workgroup (compile time only)
; SGPRBlocks: 4
; VGPRBlocks: 4
; NumSGPRsForWavesPerEU: 39
; NumVGPRsForWavesPerEU: 38
; AccumOffset: 40
; Occupancy: 8
; WaveLimiterHint : 1
; COMPUTE_PGM_RSRC2:SCRATCH_EN: 0
; COMPUTE_PGM_RSRC2:USER_SGPR: 8
; COMPUTE_PGM_RSRC2:TRAP_HANDLER: 0
; COMPUTE_PGM_RSRC2:TGID_X_EN: 1
; COMPUTE_PGM_RSRC2:TGID_Y_EN: 0
; COMPUTE_PGM_RSRC2:TGID_Z_EN: 0
; COMPUTE_PGM_RSRC2:TIDIG_COMP_CNT: 0
; COMPUTE_PGM_RSRC3_GFX90A:ACCUM_OFFSET: 9
; COMPUTE_PGM_RSRC3_GFX90A:TG_SPLIT: 0
	.section	.text._ZN2at6native27unrolled_elementwise_kernelIZZZNS0_12_GLOBAL__N_130modified_bessel_k0_kernel_cudaERNS_18TensorIteratorBaseEENKUlvE_clEvENKUlvE_clEvEUldE_St5arrayIPcLm2EELi4E23TrivialOffsetCalculatorILi1EjESC_NS0_6memory15LoadWithoutCastENSD_16StoreWithoutCastEEEviT_T0_T2_T3_T4_T5_,"axG",@progbits,_ZN2at6native27unrolled_elementwise_kernelIZZZNS0_12_GLOBAL__N_130modified_bessel_k0_kernel_cudaERNS_18TensorIteratorBaseEENKUlvE_clEvENKUlvE_clEvEUldE_St5arrayIPcLm2EELi4E23TrivialOffsetCalculatorILi1EjESC_NS0_6memory15LoadWithoutCastENSD_16StoreWithoutCastEEEviT_T0_T2_T3_T4_T5_,comdat
	.globl	_ZN2at6native27unrolled_elementwise_kernelIZZZNS0_12_GLOBAL__N_130modified_bessel_k0_kernel_cudaERNS_18TensorIteratorBaseEENKUlvE_clEvENKUlvE_clEvEUldE_St5arrayIPcLm2EELi4E23TrivialOffsetCalculatorILi1EjESC_NS0_6memory15LoadWithoutCastENSD_16StoreWithoutCastEEEviT_T0_T2_T3_T4_T5_ ; -- Begin function _ZN2at6native27unrolled_elementwise_kernelIZZZNS0_12_GLOBAL__N_130modified_bessel_k0_kernel_cudaERNS_18TensorIteratorBaseEENKUlvE_clEvENKUlvE_clEvEUldE_St5arrayIPcLm2EELi4E23TrivialOffsetCalculatorILi1EjESC_NS0_6memory15LoadWithoutCastENSD_16StoreWithoutCastEEEviT_T0_T2_T3_T4_T5_
	.p2align	8
	.type	_ZN2at6native27unrolled_elementwise_kernelIZZZNS0_12_GLOBAL__N_130modified_bessel_k0_kernel_cudaERNS_18TensorIteratorBaseEENKUlvE_clEvENKUlvE_clEvEUldE_St5arrayIPcLm2EELi4E23TrivialOffsetCalculatorILi1EjESC_NS0_6memory15LoadWithoutCastENSD_16StoreWithoutCastEEEviT_T0_T2_T3_T4_T5_,@function
_ZN2at6native27unrolled_elementwise_kernelIZZZNS0_12_GLOBAL__N_130modified_bessel_k0_kernel_cudaERNS_18TensorIteratorBaseEENKUlvE_clEvENKUlvE_clEvEUldE_St5arrayIPcLm2EELi4E23TrivialOffsetCalculatorILi1EjESC_NS0_6memory15LoadWithoutCastENSD_16StoreWithoutCastEEEviT_T0_T2_T3_T4_T5_: ; @_ZN2at6native27unrolled_elementwise_kernelIZZZNS0_12_GLOBAL__N_130modified_bessel_k0_kernel_cudaERNS_18TensorIteratorBaseEENKUlvE_clEvENKUlvE_clEvEUldE_St5arrayIPcLm2EELi4E23TrivialOffsetCalculatorILi1EjESC_NS0_6memory15LoadWithoutCastENSD_16StoreWithoutCastEEEviT_T0_T2_T3_T4_T5_
; %bb.0:
	s_add_u32 flat_scratch_lo, s6, s9
	s_load_dword s6, s[4:5], 0x0
	s_load_dwordx4 s[16:19], s[4:5], 0x8
	s_addc_u32 flat_scratch_hi, s7, 0
	s_add_u32 s0, s0, s9
	s_addc_u32 s1, s1, 0
	s_lshl_b32 s4, s8, 10
	s_waitcnt lgkmcnt(0)
	s_sub_i32 s6, s6, s4
	s_mov_b32 s12, s8
	v_mov_b32_e32 v31, v0
	v_mov_b32_e32 v0, s16
	;; [unrolled: 1-line block ×6, first 2 shown]
	s_mov_b32 s32, 0
	s_getpc_b64 s[4:5]
	s_add_u32 s4, s4, _ZN2at6native25elementwise_kernel_helperILb0EZZZNS0_12_GLOBAL__N_130modified_bessel_k0_kernel_cudaERNS_18TensorIteratorBaseEENKUlvE_clEvENKUlvE_clEvEUldE_NS0_6memory8policies11unroll_baseILi256ESt5arrayIPcLm2EE23TrivialOffsetCalculatorILi1EjESF_NS8_15LoadWithoutCastENS8_16StoreWithoutCastELi4ELi1EEEEEvT0_T1_@rel32@lo+4
	s_addc_u32 s5, s5, _ZN2at6native25elementwise_kernel_helperILb0EZZZNS0_12_GLOBAL__N_130modified_bessel_k0_kernel_cudaERNS_18TensorIteratorBaseEENKUlvE_clEvENKUlvE_clEvEUldE_NS0_6memory8policies11unroll_baseILi256ESt5arrayIPcLm2EE23TrivialOffsetCalculatorILi1EjESF_NS8_15LoadWithoutCastENS8_16StoreWithoutCastELi4ELi1EEEEEvT0_T1_@rel32@hi+12
	s_swappc_b64 s[30:31], s[4:5]
	s_endpgm
	.section	.rodata,"a",@progbits
	.p2align	6, 0x0
	.amdhsa_kernel _ZN2at6native27unrolled_elementwise_kernelIZZZNS0_12_GLOBAL__N_130modified_bessel_k0_kernel_cudaERNS_18TensorIteratorBaseEENKUlvE_clEvENKUlvE_clEvEUldE_St5arrayIPcLm2EELi4E23TrivialOffsetCalculatorILi1EjESC_NS0_6memory15LoadWithoutCastENSD_16StoreWithoutCastEEEviT_T0_T2_T3_T4_T5_
		.amdhsa_group_segment_fixed_size 0
		.amdhsa_private_segment_fixed_size 0
		.amdhsa_kernarg_size 28
		.amdhsa_user_sgpr_count 8
		.amdhsa_user_sgpr_private_segment_buffer 1
		.amdhsa_user_sgpr_dispatch_ptr 0
		.amdhsa_user_sgpr_queue_ptr 0
		.amdhsa_user_sgpr_kernarg_segment_ptr 1
		.amdhsa_user_sgpr_dispatch_id 0
		.amdhsa_user_sgpr_flat_scratch_init 1
		.amdhsa_user_sgpr_kernarg_preload_length 0
		.amdhsa_user_sgpr_kernarg_preload_offset 0
		.amdhsa_user_sgpr_private_segment_size 0
		.amdhsa_uses_dynamic_stack 0
		.amdhsa_system_sgpr_private_segment_wavefront_offset 0
		.amdhsa_system_sgpr_workgroup_id_x 1
		.amdhsa_system_sgpr_workgroup_id_y 0
		.amdhsa_system_sgpr_workgroup_id_z 0
		.amdhsa_system_sgpr_workgroup_info 0
		.amdhsa_system_vgpr_workitem_id 0
		.amdhsa_next_free_vgpr 38
		.amdhsa_next_free_sgpr 33
		.amdhsa_accum_offset 40
		.amdhsa_reserve_vcc 1
		.amdhsa_reserve_flat_scratch 1
		.amdhsa_float_round_mode_32 0
		.amdhsa_float_round_mode_16_64 0
		.amdhsa_float_denorm_mode_32 3
		.amdhsa_float_denorm_mode_16_64 3
		.amdhsa_dx10_clamp 1
		.amdhsa_ieee_mode 1
		.amdhsa_fp16_overflow 0
		.amdhsa_tg_split 0
		.amdhsa_exception_fp_ieee_invalid_op 0
		.amdhsa_exception_fp_denorm_src 0
		.amdhsa_exception_fp_ieee_div_zero 0
		.amdhsa_exception_fp_ieee_overflow 0
		.amdhsa_exception_fp_ieee_underflow 0
		.amdhsa_exception_fp_ieee_inexact 0
		.amdhsa_exception_int_div_zero 0
	.end_amdhsa_kernel
	.section	.text._ZN2at6native27unrolled_elementwise_kernelIZZZNS0_12_GLOBAL__N_130modified_bessel_k0_kernel_cudaERNS_18TensorIteratorBaseEENKUlvE_clEvENKUlvE_clEvEUldE_St5arrayIPcLm2EELi4E23TrivialOffsetCalculatorILi1EjESC_NS0_6memory15LoadWithoutCastENSD_16StoreWithoutCastEEEviT_T0_T2_T3_T4_T5_,"axG",@progbits,_ZN2at6native27unrolled_elementwise_kernelIZZZNS0_12_GLOBAL__N_130modified_bessel_k0_kernel_cudaERNS_18TensorIteratorBaseEENKUlvE_clEvENKUlvE_clEvEUldE_St5arrayIPcLm2EELi4E23TrivialOffsetCalculatorILi1EjESC_NS0_6memory15LoadWithoutCastENSD_16StoreWithoutCastEEEviT_T0_T2_T3_T4_T5_,comdat
.Lfunc_end6:
	.size	_ZN2at6native27unrolled_elementwise_kernelIZZZNS0_12_GLOBAL__N_130modified_bessel_k0_kernel_cudaERNS_18TensorIteratorBaseEENKUlvE_clEvENKUlvE_clEvEUldE_St5arrayIPcLm2EELi4E23TrivialOffsetCalculatorILi1EjESC_NS0_6memory15LoadWithoutCastENSD_16StoreWithoutCastEEEviT_T0_T2_T3_T4_T5_, .Lfunc_end6-_ZN2at6native27unrolled_elementwise_kernelIZZZNS0_12_GLOBAL__N_130modified_bessel_k0_kernel_cudaERNS_18TensorIteratorBaseEENKUlvE_clEvENKUlvE_clEvEUldE_St5arrayIPcLm2EELi4E23TrivialOffsetCalculatorILi1EjESC_NS0_6memory15LoadWithoutCastENSD_16StoreWithoutCastEEEviT_T0_T2_T3_T4_T5_
                                        ; -- End function
	.section	.AMDGPU.csdata,"",@progbits
; Kernel info:
; codeLenInByte = 104
; NumSgprs: 39
; NumVgprs: 38
; NumAgprs: 0
; TotalNumVgprs: 38
; ScratchSize: 0
; MemoryBound: 0
; FloatMode: 240
; IeeeMode: 1
; LDSByteSize: 0 bytes/workgroup (compile time only)
; SGPRBlocks: 4
; VGPRBlocks: 4
; NumSGPRsForWavesPerEU: 39
; NumVGPRsForWavesPerEU: 38
; AccumOffset: 40
; Occupancy: 8
; WaveLimiterHint : 0
; COMPUTE_PGM_RSRC2:SCRATCH_EN: 0
; COMPUTE_PGM_RSRC2:USER_SGPR: 8
; COMPUTE_PGM_RSRC2:TRAP_HANDLER: 0
; COMPUTE_PGM_RSRC2:TGID_X_EN: 1
; COMPUTE_PGM_RSRC2:TGID_Y_EN: 0
; COMPUTE_PGM_RSRC2:TGID_Z_EN: 0
; COMPUTE_PGM_RSRC2:TIDIG_COMP_CNT: 0
; COMPUTE_PGM_RSRC3_GFX90A:ACCUM_OFFSET: 9
; COMPUTE_PGM_RSRC3_GFX90A:TG_SPLIT: 0
	.section	.text._ZN2at6native32elementwise_kernel_manual_unrollILi128ELi4EZNS0_22gpu_kernel_impl_nocastIZZZNS0_12_GLOBAL__N_130modified_bessel_k0_kernel_cudaERNS_18TensorIteratorBaseEENKUlvE_clEvENKUlvE_clEvEUldE_EEvS5_RKT_EUlibE_EEviT1_,"axG",@progbits,_ZN2at6native32elementwise_kernel_manual_unrollILi128ELi4EZNS0_22gpu_kernel_impl_nocastIZZZNS0_12_GLOBAL__N_130modified_bessel_k0_kernel_cudaERNS_18TensorIteratorBaseEENKUlvE_clEvENKUlvE_clEvEUldE_EEvS5_RKT_EUlibE_EEviT1_,comdat
	.globl	_ZN2at6native32elementwise_kernel_manual_unrollILi128ELi4EZNS0_22gpu_kernel_impl_nocastIZZZNS0_12_GLOBAL__N_130modified_bessel_k0_kernel_cudaERNS_18TensorIteratorBaseEENKUlvE_clEvENKUlvE_clEvEUldE_EEvS5_RKT_EUlibE_EEviT1_ ; -- Begin function _ZN2at6native32elementwise_kernel_manual_unrollILi128ELi4EZNS0_22gpu_kernel_impl_nocastIZZZNS0_12_GLOBAL__N_130modified_bessel_k0_kernel_cudaERNS_18TensorIteratorBaseEENKUlvE_clEvENKUlvE_clEvEUldE_EEvS5_RKT_EUlibE_EEviT1_
	.p2align	8
	.type	_ZN2at6native32elementwise_kernel_manual_unrollILi128ELi4EZNS0_22gpu_kernel_impl_nocastIZZZNS0_12_GLOBAL__N_130modified_bessel_k0_kernel_cudaERNS_18TensorIteratorBaseEENKUlvE_clEvENKUlvE_clEvEUldE_EEvS5_RKT_EUlibE_EEviT1_,@function
_ZN2at6native32elementwise_kernel_manual_unrollILi128ELi4EZNS0_22gpu_kernel_impl_nocastIZZZNS0_12_GLOBAL__N_130modified_bessel_k0_kernel_cudaERNS_18TensorIteratorBaseEENKUlvE_clEvENKUlvE_clEvEUldE_EEvS5_RKT_EUlibE_EEviT1_: ; @_ZN2at6native32elementwise_kernel_manual_unrollILi128ELi4EZNS0_22gpu_kernel_impl_nocastIZZZNS0_12_GLOBAL__N_130modified_bessel_k0_kernel_cudaERNS_18TensorIteratorBaseEENKUlvE_clEvENKUlvE_clEvEUldE_EEvS5_RKT_EUlibE_EEviT1_
; %bb.0:
	s_load_dword s57, s[4:5], 0x0
	s_load_dword s33, s[4:5], 0x8
	s_or_b32 s4, s4, 8
	v_lshl_or_b32 v8, s6, 9, v0
	v_or_b32_e32 v9, 0x180, v8
	s_waitcnt lgkmcnt(0)
	v_cmp_le_i32_e32 vcc, s57, v9
	s_add_i32 s56, s33, -1
	s_cmp_gt_u32 s56, 1
	s_cselect_b64 s[6:7], -1, 0
	s_and_saveexec_b64 s[0:1], vcc
	s_xor_b64 s[34:35], exec, s[0:1]
	s_cbranch_execz .LBB7_8
; %bb.1:
	s_load_dwordx4 s[28:31], s[4:5], 0x4
	s_load_dwordx2 s[40:41], s[4:5], 0x14
	s_load_dwordx4 s[24:27], s[4:5], 0xc4
	s_load_dwordx4 s[0:3], s[4:5], 0x148
	s_cmp_lg_u32 s33, 0
	s_cselect_b64 s[46:47], -1, 0
	s_add_u32 s44, s4, 0xc4
	s_addc_u32 s45, s5, 0
	s_min_u32 s58, s56, 15
	s_cmp_gt_u32 s33, 1
	s_cselect_b64 s[42:43], -1, 0
	v_cmp_gt_i32_e32 vcc, s57, v8
	s_and_saveexec_b64 s[48:49], vcc
	s_cbranch_execz .LBB7_16
; %bb.2:
	s_andn2_b64 vcc, exec, s[6:7]
	s_cbranch_vccnz .LBB7_24
; %bb.3:
	s_mov_b32 s50, 0
	s_andn2_b64 vcc, exec, s[46:47]
	v_mov_b32_e32 v2, 0
	v_mov_b32_e32 v0, 0
	s_cbranch_vccnz .LBB7_128
; %bb.4:
	s_add_i32 s59, s58, 1
	s_cmp_eq_u32 s56, 2
	s_cbranch_scc1 .LBB7_123
; %bb.5:
	s_and_b32 s50, s59, 28
	s_mov_b32 s51, 0
	v_mov_b32_e32 v0, 0
	s_mov_b64 s[52:53], s[4:5]
	s_mov_b64 s[54:55], s[44:45]
	v_mov_b32_e32 v3, v8
	v_mov_b32_e32 v2, 0
.LBB7_6:                                ; =>This Inner Loop Header: Depth=1
	s_load_dwordx8 s[16:23], s[52:53], 0x4
	s_load_dwordx4 s[36:39], s[52:53], 0x24
	s_load_dwordx8 s[8:15], s[54:55], 0x0
	s_add_u32 s52, s52, 48
	s_addc_u32 s53, s53, 0
	s_waitcnt lgkmcnt(0)
	v_mul_hi_u32 v1, s17, v3
	v_add_u32_e32 v1, v3, v1
	v_lshrrev_b32_e32 v1, s18, v1
	v_mul_lo_u32 v4, v1, s16
	v_mul_hi_u32 v5, s20, v1
	v_sub_u32_e32 v3, v3, v4
	v_add_u32_e32 v4, v1, v5
	v_lshrrev_b32_e32 v4, s21, v4
	v_mul_lo_u32 v6, v4, s19
	v_mul_hi_u32 v7, s23, v4
	v_sub_u32_e32 v1, v1, v6
	v_add_u32_e32 v6, v4, v7
	v_mul_lo_u32 v5, v3, s9
	v_mul_lo_u32 v3, v3, s8
	;; [unrolled: 1-line block ×4, first 2 shown]
	v_lshrrev_b32_e32 v6, s36, v6
	v_add3_u32 v0, v3, v0, v1
	v_mul_hi_u32 v3, s38, v6
	v_add_u32_e32 v3, v6, v3
	v_lshrrev_b32_e32 v3, s39, v3
	s_add_i32 s51, s51, 4
	v_add3_u32 v1, v5, v2, v7
	v_mul_lo_u32 v2, v6, s22
	v_mul_lo_u32 v5, v3, s37
	s_add_u32 s54, s54, 32
	v_sub_u32_e32 v2, v4, v2
	v_sub_u32_e32 v5, v6, v5
	s_addc_u32 s55, s55, 0
	v_mul_lo_u32 v4, v2, s12
	v_mul_lo_u32 v2, v2, s13
	;; [unrolled: 1-line block ×4, first 2 shown]
	s_cmp_lg_u32 s50, s51
	v_add3_u32 v2, v2, v1, v5
	v_add3_u32 v0, v4, v0, v6
	s_cbranch_scc1 .LBB7_6
; %bb.7:
	v_mov_b32_e32 v1, v2
	s_branch .LBB7_124
.LBB7_8:
	s_andn2_saveexec_b64 s[0:1], s[34:35]
	s_cbranch_execz .LBB7_175
.LBB7_9:
	v_cndmask_b32_e64 v0, 0, 1, s[6:7]
	v_cmp_ne_u32_e64 s[0:1], 1, v0
	s_andn2_b64 vcc, exec, s[6:7]
	s_cbranch_vccnz .LBB7_23
; %bb.10:
	s_mov_b32 s2, 0
	s_cmp_lg_u32 s33, 0
	v_mov_b32_e32 v10, 0
	v_mov_b32_e32 v0, 0
	s_cbranch_scc0 .LBB7_15
; %bb.11:
	s_min_u32 s30, s56, 15
	s_add_i32 s30, s30, 1
	s_cmp_eq_u32 s56, 2
	s_cbranch_scc1 .LBB7_26
; %bb.12:
	s_add_u32 s6, s4, 0xc4
	s_addc_u32 s7, s5, 0
	s_and_b32 s2, s30, 28
	s_mov_b32 s3, 0
	v_mov_b32_e32 v0, 0
	s_mov_b64 s[28:29], s[4:5]
	v_mov_b32_e32 v2, v8
	v_mov_b32_e32 v10, 0
.LBB7_13:                               ; =>This Inner Loop Header: Depth=1
	s_load_dwordx8 s[16:23], s[28:29], 0x4
	s_load_dwordx4 s[24:27], s[28:29], 0x24
	s_load_dwordx8 s[8:15], s[6:7], 0x0
	s_add_u32 s28, s28, 48
	s_addc_u32 s29, s29, 0
	s_waitcnt lgkmcnt(0)
	v_mul_hi_u32 v1, s17, v2
	v_add_u32_e32 v1, v2, v1
	v_lshrrev_b32_e32 v1, s18, v1
	v_mul_lo_u32 v3, v1, s16
	v_mul_hi_u32 v4, s20, v1
	v_sub_u32_e32 v2, v2, v3
	v_add_u32_e32 v3, v1, v4
	v_lshrrev_b32_e32 v3, s21, v3
	v_mul_lo_u32 v5, v3, s19
	v_mul_hi_u32 v6, s23, v3
	v_sub_u32_e32 v1, v1, v5
	v_add_u32_e32 v5, v3, v6
	v_mul_lo_u32 v4, v2, s9
	v_mul_lo_u32 v2, v2, s8
	;; [unrolled: 1-line block ×4, first 2 shown]
	v_lshrrev_b32_e32 v5, s24, v5
	v_add3_u32 v0, v2, v0, v1
	v_add3_u32 v1, v4, v10, v6
	v_mul_lo_u32 v2, v5, s22
	v_mul_hi_u32 v4, s26, v5
	v_sub_u32_e32 v2, v3, v2
	v_add_u32_e32 v3, v5, v4
	v_mul_lo_u32 v4, v2, s12
	v_mul_lo_u32 v6, v2, s13
	v_lshrrev_b32_e32 v2, s27, v3
	s_add_i32 s3, s3, 4
	v_mul_lo_u32 v3, v2, s25
	s_add_u32 s6, s6, 32
	v_sub_u32_e32 v3, v5, v3
	s_addc_u32 s7, s7, 0
	v_mul_lo_u32 v5, v3, s14
	v_mul_lo_u32 v3, v3, s15
	s_cmp_lg_u32 s2, s3
	v_add3_u32 v10, v6, v1, v3
	v_add3_u32 v0, v4, v0, v5
	s_cbranch_scc1 .LBB7_13
; %bb.14:
	v_mov_b32_e32 v1, v10
	s_and_b32 s8, s30, 3
	s_cmp_eq_u32 s8, 0
	s_cbranch_scc0 .LBB7_27
.LBB7_15:
	s_cbranch_execz .LBB7_30
	s_branch .LBB7_32
.LBB7_16:
	s_or_b64 exec, exec, s[48:49]
	v_cmp_gt_i32_e32 vcc, s57, v8
	s_and_saveexec_b64 s[48:49], vcc
	s_cbranch_execz .LBB7_144
.LBB7_17:
	s_andn2_b64 vcc, exec, s[6:7]
	s_cbranch_vccnz .LBB7_25
; %bb.18:
	s_mov_b32 s50, 0
	s_andn2_b64 vcc, exec, s[46:47]
	v_mov_b32_e32 v2, 0
	v_mov_b32_e32 v0, 0
	s_cbranch_vccnz .LBB7_157
; %bb.19:
	s_add_i32 s59, s58, 1
	s_cmp_eq_u32 s56, 2
	s_cbranch_scc1 .LBB7_152
; %bb.20:
	s_and_b32 s50, s59, 28
	s_mov_b32 s51, 0
	v_mov_b32_e32 v0, 0
	s_mov_b64 s[52:53], s[4:5]
	s_mov_b64 s[54:55], s[44:45]
	v_mov_b32_e32 v3, v8
	v_mov_b32_e32 v2, 0
.LBB7_21:                               ; =>This Inner Loop Header: Depth=1
	s_load_dwordx8 s[16:23], s[52:53], 0x4
	s_load_dwordx4 s[36:39], s[52:53], 0x24
	s_load_dwordx8 s[8:15], s[54:55], 0x0
	s_add_u32 s52, s52, 48
	s_addc_u32 s53, s53, 0
	s_waitcnt lgkmcnt(0)
	v_mul_hi_u32 v1, s17, v3
	v_add_u32_e32 v1, v3, v1
	v_lshrrev_b32_e32 v1, s18, v1
	v_mul_lo_u32 v4, v1, s16
	v_mul_hi_u32 v5, s20, v1
	v_sub_u32_e32 v3, v3, v4
	v_add_u32_e32 v4, v1, v5
	v_lshrrev_b32_e32 v4, s21, v4
	v_mul_lo_u32 v6, v4, s19
	v_mul_hi_u32 v7, s23, v4
	v_sub_u32_e32 v1, v1, v6
	v_add_u32_e32 v6, v4, v7
	v_mul_lo_u32 v5, v3, s9
	v_mul_lo_u32 v3, v3, s8
	;; [unrolled: 1-line block ×4, first 2 shown]
	v_lshrrev_b32_e32 v6, s36, v6
	v_add3_u32 v0, v3, v0, v1
	v_mul_hi_u32 v3, s38, v6
	v_add_u32_e32 v3, v6, v3
	v_lshrrev_b32_e32 v3, s39, v3
	s_add_i32 s51, s51, 4
	v_add3_u32 v1, v5, v2, v7
	v_mul_lo_u32 v2, v6, s22
	v_mul_lo_u32 v5, v3, s37
	s_add_u32 s54, s54, 32
	v_sub_u32_e32 v2, v4, v2
	v_sub_u32_e32 v5, v6, v5
	s_addc_u32 s55, s55, 0
	v_mul_lo_u32 v4, v2, s12
	v_mul_lo_u32 v2, v2, s13
	;; [unrolled: 1-line block ×4, first 2 shown]
	s_cmp_eq_u32 s50, s51
	v_add3_u32 v2, v2, v1, v5
	v_add3_u32 v0, v4, v0, v6
	s_cbranch_scc0 .LBB7_21
; %bb.22:
	v_mov_b32_e32 v1, v2
	s_branch .LBB7_153
.LBB7_23:
                                        ; implicit-def: $vgpr10
                                        ; implicit-def: $vgpr0
	s_branch .LBB7_30
.LBB7_24:
                                        ; implicit-def: $vgpr2
                                        ; implicit-def: $vgpr0
	s_branch .LBB7_129
.LBB7_25:
                                        ; implicit-def: $vgpr2
                                        ; implicit-def: $vgpr0
	s_branch .LBB7_158
.LBB7_26:
	s_mov_b32 s3, s2
	v_pk_mov_b32 v[0:1], s[2:3], s[2:3] op_sel:[0,1]
                                        ; implicit-def: $vgpr10
	v_mov_b32_e32 v2, v8
	s_and_b32 s8, s30, 3
	s_cmp_eq_u32 s8, 0
	s_cbranch_scc1 .LBB7_15
.LBB7_27:
	s_lshl_b32 s3, s2, 3
	s_add_u32 s3, s3, s4
	s_addc_u32 s7, 0, s5
	s_add_u32 s6, s3, 0xc4
	s_addc_u32 s7, s7, 0
	s_mul_i32 s2, s2, 12
	s_add_u32 s2, s4, s2
	s_addc_u32 s3, 0, s5
.LBB7_28:                               ; =>This Inner Loop Header: Depth=1
	s_load_dwordx2 s[10:11], s[2:3], 0x4
	s_load_dword s9, s[2:3], 0xc
	s_load_dwordx2 s[12:13], s[6:7], 0x0
	v_mov_b32_e32 v4, v1
	s_add_u32 s2, s2, 12
	s_waitcnt lgkmcnt(0)
	v_mul_hi_u32 v1, s11, v2
	v_add_u32_e32 v1, v2, v1
	v_lshrrev_b32_e32 v1, s9, v1
	s_addc_u32 s3, s3, 0
	v_mul_lo_u32 v3, v1, s10
	s_add_u32 s6, s6, 8
	v_sub_u32_e32 v3, v2, v3
	s_addc_u32 s7, s7, 0
	s_add_i32 s8, s8, -1
	v_mov_b32_e32 v2, v1
	v_mad_u64_u32 v[4:5], s[10:11], v3, s13, v[4:5]
	v_mad_u64_u32 v[0:1], s[10:11], v3, s12, v[0:1]
	s_cmp_lg_u32 s8, 0
	v_mov_b32_e32 v1, v4
	s_cbranch_scc1 .LBB7_28
; %bb.29:
	v_mov_b32_e32 v10, v1
	s_cbranch_execnz .LBB7_32
.LBB7_30:
	s_load_dwordx4 s[8:11], s[4:5], 0x4
	s_load_dwordx2 s[2:3], s[4:5], 0xc4
	s_cmp_lt_u32 s33, 2
	s_waitcnt lgkmcnt(0)
	v_mul_hi_u32 v0, s9, v8
	v_add_u32_e32 v0, v8, v0
	v_lshrrev_b32_e32 v1, s10, v0
	v_mul_lo_u32 v0, v1, s8
	v_sub_u32_e32 v0, v8, v0
	v_mul_lo_u32 v10, v0, s3
	v_mul_lo_u32 v0, v0, s2
	s_cbranch_scc1 .LBB7_32
; %bb.31:
	s_load_dwordx4 s[8:11], s[4:5], 0x10
	s_load_dwordx2 s[2:3], s[4:5], 0xcc
	s_waitcnt lgkmcnt(0)
	v_mul_hi_u32 v2, s9, v1
	v_add_u32_e32 v2, v1, v2
	v_lshrrev_b32_e32 v2, s10, v2
	v_mul_lo_u32 v2, v2, s8
	v_sub_u32_e32 v2, v1, v2
	v_mad_u64_u32 v[0:1], s[6:7], v2, s2, v[0:1]
	v_mad_u64_u32 v[10:11], s[2:3], v2, s3, v[10:11]
.LBB7_32:
	s_and_b64 vcc, exec, s[0:1]
	v_add_u32_e32 v1, 0x80, v8
	s_cbranch_vccnz .LBB7_39
; %bb.33:
	s_mov_b32 s2, 0
	s_cmp_lg_u32 s33, 0
	v_mov_b32_e32 v16, 0
	v_mov_b32_e32 v2, 0
	s_cbranch_scc0 .LBB7_38
; %bb.34:
	s_min_u32 s30, s56, 15
	s_add_i32 s30, s30, 1
	s_cmp_eq_u32 s56, 2
	s_cbranch_scc1 .LBB7_40
; %bb.35:
	s_add_u32 s6, s4, 0xc4
	s_addc_u32 s7, s5, 0
	s_and_b32 s2, s30, 28
	s_mov_b32 s3, 0
	v_mov_b32_e32 v2, 0
	s_mov_b64 s[28:29], s[4:5]
	v_mov_b32_e32 v4, v1
	v_mov_b32_e32 v16, 0
.LBB7_36:                               ; =>This Inner Loop Header: Depth=1
	s_load_dwordx8 s[16:23], s[28:29], 0x4
	s_load_dwordx4 s[24:27], s[28:29], 0x24
	s_load_dwordx8 s[8:15], s[6:7], 0x0
	s_add_u32 s28, s28, 48
	s_addc_u32 s29, s29, 0
	s_waitcnt lgkmcnt(0)
	v_mul_hi_u32 v3, s17, v4
	v_add_u32_e32 v3, v4, v3
	v_lshrrev_b32_e32 v3, s18, v3
	v_mul_lo_u32 v5, v3, s16
	v_mul_hi_u32 v6, s20, v3
	v_sub_u32_e32 v4, v4, v5
	v_add_u32_e32 v5, v3, v6
	v_lshrrev_b32_e32 v5, s21, v5
	v_mul_lo_u32 v7, v5, s19
	v_mul_hi_u32 v11, s23, v5
	v_sub_u32_e32 v3, v3, v7
	v_add_u32_e32 v7, v5, v11
	v_mul_lo_u32 v6, v4, s9
	v_mul_lo_u32 v4, v4, s8
	;; [unrolled: 1-line block ×4, first 2 shown]
	v_lshrrev_b32_e32 v7, s24, v7
	v_add3_u32 v2, v4, v2, v3
	v_add3_u32 v3, v6, v16, v11
	v_mul_lo_u32 v4, v7, s22
	v_mul_hi_u32 v6, s26, v7
	v_sub_u32_e32 v4, v5, v4
	v_add_u32_e32 v5, v7, v6
	v_mul_lo_u32 v6, v4, s12
	v_mul_lo_u32 v11, v4, s13
	v_lshrrev_b32_e32 v4, s27, v5
	s_add_i32 s3, s3, 4
	v_mul_lo_u32 v5, v4, s25
	s_add_u32 s6, s6, 32
	v_sub_u32_e32 v5, v7, v5
	s_addc_u32 s7, s7, 0
	v_mul_lo_u32 v7, v5, s14
	v_mul_lo_u32 v5, v5, s15
	s_cmp_lg_u32 s2, s3
	v_add3_u32 v16, v11, v3, v5
	v_add3_u32 v2, v6, v2, v7
	s_cbranch_scc1 .LBB7_36
; %bb.37:
	v_mov_b32_e32 v3, v16
	s_and_b32 s8, s30, 3
	s_cmp_eq_u32 s8, 0
	s_cbranch_scc0 .LBB7_41
.LBB7_38:
	s_cbranch_execz .LBB7_44
	s_branch .LBB7_46
.LBB7_39:
                                        ; implicit-def: $vgpr16
                                        ; implicit-def: $vgpr2
	s_branch .LBB7_44
.LBB7_40:
	s_mov_b32 s3, s2
	v_pk_mov_b32 v[2:3], s[2:3], s[2:3] op_sel:[0,1]
                                        ; implicit-def: $vgpr16
	v_mov_b32_e32 v4, v1
	s_and_b32 s8, s30, 3
	s_cmp_eq_u32 s8, 0
	s_cbranch_scc1 .LBB7_38
.LBB7_41:
	s_lshl_b32 s3, s2, 3
	s_add_u32 s3, s3, s4
	s_addc_u32 s7, 0, s5
	s_add_u32 s6, s3, 0xc4
	s_addc_u32 s7, s7, 0
	s_mul_i32 s2, s2, 12
	s_add_u32 s2, s4, s2
	s_addc_u32 s3, 0, s5
.LBB7_42:                               ; =>This Inner Loop Header: Depth=1
	s_load_dwordx2 s[10:11], s[2:3], 0x4
	s_load_dword s9, s[2:3], 0xc
	s_load_dwordx2 s[12:13], s[6:7], 0x0
	v_mov_b32_e32 v6, v3
	s_add_u32 s2, s2, 12
	s_waitcnt lgkmcnt(0)
	v_mul_hi_u32 v3, s11, v4
	v_add_u32_e32 v3, v4, v3
	v_lshrrev_b32_e32 v3, s9, v3
	s_addc_u32 s3, s3, 0
	v_mul_lo_u32 v5, v3, s10
	s_add_u32 s6, s6, 8
	v_sub_u32_e32 v5, v4, v5
	s_addc_u32 s7, s7, 0
	s_add_i32 s8, s8, -1
	v_mov_b32_e32 v4, v3
	v_mad_u64_u32 v[6:7], s[10:11], v5, s13, v[6:7]
	v_mad_u64_u32 v[2:3], s[10:11], v5, s12, v[2:3]
	s_cmp_lg_u32 s8, 0
	v_mov_b32_e32 v3, v6
	s_cbranch_scc1 .LBB7_42
; %bb.43:
	v_mov_b32_e32 v16, v3
	s_cbranch_execnz .LBB7_46
.LBB7_44:
	s_load_dwordx4 s[8:11], s[4:5], 0x4
	s_load_dwordx2 s[2:3], s[4:5], 0xc4
	s_cmp_lt_u32 s33, 2
	s_waitcnt lgkmcnt(0)
	v_mul_hi_u32 v2, s9, v1
	v_add_u32_e32 v2, v1, v2
	v_lshrrev_b32_e32 v3, s10, v2
	v_mul_lo_u32 v2, v3, s8
	v_sub_u32_e32 v1, v1, v2
	v_mul_lo_u32 v16, v1, s3
	v_mul_lo_u32 v2, v1, s2
	s_cbranch_scc1 .LBB7_46
; %bb.45:
	s_load_dwordx4 s[8:11], s[4:5], 0x10
	s_load_dwordx2 s[2:3], s[4:5], 0xcc
	s_waitcnt lgkmcnt(0)
	v_mul_hi_u32 v1, s9, v3
	v_add_u32_e32 v1, v3, v1
	v_lshrrev_b32_e32 v1, s10, v1
	v_mul_lo_u32 v1, v1, s8
	v_sub_u32_e32 v1, v3, v1
	v_mad_u64_u32 v[2:3], s[6:7], v1, s2, v[2:3]
	v_mad_u64_u32 v[16:17], s[2:3], v1, s3, v[16:17]
.LBB7_46:
	s_and_b64 vcc, exec, s[0:1]
	v_add_u32_e32 v1, 0x100, v8
	s_cbranch_vccnz .LBB7_53
; %bb.47:
	s_mov_b32 s2, 0
	s_cmp_lg_u32 s33, 0
	v_mov_b32_e32 v14, 0
	v_mov_b32_e32 v4, 0
	s_cbranch_scc0 .LBB7_52
; %bb.48:
	s_min_u32 s30, s56, 15
	s_add_i32 s30, s30, 1
	s_cmp_eq_u32 s56, 2
	s_cbranch_scc1 .LBB7_54
; %bb.49:
	s_add_u32 s6, s4, 0xc4
	s_addc_u32 s7, s5, 0
	s_and_b32 s2, s30, 28
	s_mov_b32 s3, 0
	v_mov_b32_e32 v4, 0
	s_mov_b64 s[28:29], s[4:5]
	v_mov_b32_e32 v3, v1
	v_mov_b32_e32 v14, 0
.LBB7_50:                               ; =>This Inner Loop Header: Depth=1
	s_load_dwordx8 s[16:23], s[28:29], 0x4
	s_load_dwordx4 s[24:27], s[28:29], 0x24
	s_load_dwordx8 s[8:15], s[6:7], 0x0
	s_add_u32 s28, s28, 48
	s_addc_u32 s29, s29, 0
	s_waitcnt lgkmcnt(0)
	v_mul_hi_u32 v5, s17, v3
	v_add_u32_e32 v5, v3, v5
	v_lshrrev_b32_e32 v5, s18, v5
	v_mul_lo_u32 v6, v5, s16
	v_mul_hi_u32 v7, s20, v5
	v_sub_u32_e32 v3, v3, v6
	v_add_u32_e32 v6, v5, v7
	v_lshrrev_b32_e32 v6, s21, v6
	v_mul_lo_u32 v8, v6, s19
	v_mul_hi_u32 v11, s23, v6
	v_sub_u32_e32 v5, v5, v8
	v_add_u32_e32 v8, v6, v11
	v_mul_lo_u32 v7, v3, s9
	v_mul_lo_u32 v3, v3, s8
	v_mul_lo_u32 v11, v5, s11
	v_mul_lo_u32 v5, v5, s10
	v_lshrrev_b32_e32 v8, s24, v8
	v_add3_u32 v4, v3, v4, v5
	v_add3_u32 v5, v7, v14, v11
	v_mul_lo_u32 v3, v8, s22
	v_mul_hi_u32 v7, s26, v8
	v_sub_u32_e32 v3, v6, v3
	v_add_u32_e32 v6, v8, v7
	v_mul_lo_u32 v7, v3, s12
	v_mul_lo_u32 v11, v3, s13
	v_lshrrev_b32_e32 v3, s27, v6
	s_add_i32 s3, s3, 4
	v_mul_lo_u32 v6, v3, s25
	s_add_u32 s6, s6, 32
	v_sub_u32_e32 v6, v8, v6
	s_addc_u32 s7, s7, 0
	v_mul_lo_u32 v8, v6, s14
	v_mul_lo_u32 v6, v6, s15
	s_cmp_lg_u32 s2, s3
	v_add3_u32 v14, v11, v5, v6
	v_add3_u32 v4, v7, v4, v8
	s_cbranch_scc1 .LBB7_50
; %bb.51:
	v_mov_b32_e32 v5, v14
	s_and_b32 s8, s30, 3
	s_cmp_eq_u32 s8, 0
	s_cbranch_scc0 .LBB7_55
.LBB7_52:
	s_cbranch_execz .LBB7_58
	s_branch .LBB7_60
.LBB7_53:
                                        ; implicit-def: $vgpr14
                                        ; implicit-def: $vgpr4
	s_branch .LBB7_58
.LBB7_54:
	s_mov_b32 s3, s2
	v_pk_mov_b32 v[4:5], s[2:3], s[2:3] op_sel:[0,1]
                                        ; implicit-def: $vgpr14
	v_mov_b32_e32 v3, v1
	s_and_b32 s8, s30, 3
	s_cmp_eq_u32 s8, 0
	s_cbranch_scc1 .LBB7_52
.LBB7_55:
	s_lshl_b32 s3, s2, 3
	s_add_u32 s3, s3, s4
	s_addc_u32 s7, 0, s5
	s_add_u32 s6, s3, 0xc4
	s_addc_u32 s7, s7, 0
	s_mul_i32 s2, s2, 12
	s_add_u32 s2, s4, s2
	s_addc_u32 s3, 0, s5
.LBB7_56:                               ; =>This Inner Loop Header: Depth=1
	s_load_dwordx2 s[10:11], s[2:3], 0x4
	s_load_dword s9, s[2:3], 0xc
	s_load_dwordx2 s[12:13], s[6:7], 0x0
	v_mov_b32_e32 v6, v5
	s_add_u32 s2, s2, 12
	s_waitcnt lgkmcnt(0)
	v_mul_hi_u32 v5, s11, v3
	v_add_u32_e32 v5, v3, v5
	v_lshrrev_b32_e32 v5, s9, v5
	s_addc_u32 s3, s3, 0
	v_mul_lo_u32 v7, v5, s10
	s_add_u32 s6, s6, 8
	v_sub_u32_e32 v8, v3, v7
	s_addc_u32 s7, s7, 0
	s_add_i32 s8, s8, -1
	v_mov_b32_e32 v3, v5
	v_mad_u64_u32 v[6:7], s[10:11], v8, s13, v[6:7]
	v_mad_u64_u32 v[4:5], s[10:11], v8, s12, v[4:5]
	s_cmp_lg_u32 s8, 0
	v_mov_b32_e32 v5, v6
	s_cbranch_scc1 .LBB7_56
; %bb.57:
	v_mov_b32_e32 v14, v5
	s_cbranch_execnz .LBB7_60
.LBB7_58:
	s_load_dwordx4 s[8:11], s[4:5], 0x4
	s_load_dwordx2 s[2:3], s[4:5], 0xc4
	s_cmp_lt_u32 s33, 2
	s_waitcnt lgkmcnt(0)
	v_mul_hi_u32 v3, s9, v1
	v_add_u32_e32 v3, v1, v3
	v_lshrrev_b32_e32 v3, s10, v3
	v_mul_lo_u32 v4, v3, s8
	v_sub_u32_e32 v1, v1, v4
	v_mul_lo_u32 v14, v1, s3
	v_mul_lo_u32 v4, v1, s2
	s_cbranch_scc1 .LBB7_60
; %bb.59:
	s_load_dwordx4 s[8:11], s[4:5], 0x10
	s_load_dwordx2 s[2:3], s[4:5], 0xcc
	s_waitcnt lgkmcnt(0)
	v_mul_hi_u32 v1, s9, v3
	v_add_u32_e32 v1, v3, v1
	v_lshrrev_b32_e32 v1, s10, v1
	v_mul_lo_u32 v1, v1, s8
	v_sub_u32_e32 v1, v3, v1
	v_mad_u64_u32 v[4:5], s[6:7], v1, s2, v[4:5]
	v_mad_u64_u32 v[14:15], s[2:3], v1, s3, v[14:15]
.LBB7_60:
	s_and_b64 vcc, exec, s[0:1]
	s_cbranch_vccnz .LBB7_67
; %bb.61:
	s_mov_b32 s6, 0
	s_cmp_lg_u32 s33, 0
	v_mov_b32_e32 v8, 0
	v_mov_b32_e32 v6, 0
	s_cbranch_scc0 .LBB7_66
; %bb.62:
	s_min_u32 s28, s56, 15
	s_add_i32 s28, s28, 1
	s_cmp_eq_u32 s56, 2
	s_cbranch_scc1 .LBB7_68
; %bb.63:
	s_add_u32 s24, s4, 0xc4
	s_addc_u32 s25, s5, 0
	s_and_b32 s6, s28, 28
	s_mov_b32 s7, 0
	v_mov_b32_e32 v6, 0
	s_mov_b64 s[26:27], s[4:5]
	v_mov_b32_e32 v1, v9
	v_mov_b32_e32 v8, 0
.LBB7_64:                               ; =>This Inner Loop Header: Depth=1
	s_load_dwordx8 s[16:23], s[26:27], 0x4
	s_load_dwordx4 s[0:3], s[26:27], 0x24
	s_load_dwordx8 s[8:15], s[24:25], 0x0
	s_add_u32 s26, s26, 48
	s_addc_u32 s27, s27, 0
	s_waitcnt lgkmcnt(0)
	v_mul_hi_u32 v3, s17, v1
	v_add_u32_e32 v3, v1, v3
	v_lshrrev_b32_e32 v3, s18, v3
	v_mul_lo_u32 v5, v3, s16
	v_mul_hi_u32 v7, s20, v3
	v_sub_u32_e32 v1, v1, v5
	v_add_u32_e32 v5, v3, v7
	v_lshrrev_b32_e32 v5, s21, v5
	v_mul_lo_u32 v11, v5, s19
	v_mul_hi_u32 v12, s23, v5
	v_sub_u32_e32 v3, v3, v11
	v_add_u32_e32 v11, v5, v12
	v_mul_lo_u32 v7, v1, s9
	v_mul_lo_u32 v1, v1, s8
	;; [unrolled: 1-line block ×4, first 2 shown]
	v_lshrrev_b32_e32 v11, s0, v11
	v_add3_u32 v3, v1, v6, v3
	v_add3_u32 v6, v7, v8, v12
	v_mul_lo_u32 v1, v11, s22
	v_mul_hi_u32 v7, s2, v11
	v_sub_u32_e32 v1, v5, v1
	v_add_u32_e32 v5, v11, v7
	v_mul_lo_u32 v7, v1, s12
	v_mul_lo_u32 v8, v1, s13
	v_lshrrev_b32_e32 v1, s3, v5
	s_add_i32 s7, s7, 4
	v_mul_lo_u32 v5, v1, s1
	s_add_u32 s24, s24, 32
	v_sub_u32_e32 v5, v11, v5
	s_addc_u32 s25, s25, 0
	v_mul_lo_u32 v11, v5, s14
	v_mul_lo_u32 v5, v5, s15
	s_cmp_lg_u32 s6, s7
	v_add3_u32 v8, v8, v6, v5
	v_add3_u32 v6, v7, v3, v11
	s_cbranch_scc1 .LBB7_64
; %bb.65:
	v_mov_b32_e32 v7, v8
	s_and_b32 s7, s28, 3
	s_cmp_eq_u32 s7, 0
	s_cbranch_scc0 .LBB7_69
.LBB7_66:
	s_cbranch_execz .LBB7_72
	s_branch .LBB7_74
.LBB7_67:
                                        ; implicit-def: $vgpr8
                                        ; implicit-def: $vgpr6
	s_branch .LBB7_72
.LBB7_68:
	s_mov_b32 s7, s6
	v_pk_mov_b32 v[6:7], s[6:7], s[6:7] op_sel:[0,1]
                                        ; implicit-def: $vgpr8
	v_mov_b32_e32 v1, v9
	s_and_b32 s7, s28, 3
	s_cmp_eq_u32 s7, 0
	s_cbranch_scc1 .LBB7_66
.LBB7_69:
	s_lshl_b32 s0, s6, 3
	s_add_u32 s0, s0, s4
	s_addc_u32 s1, 0, s5
	s_add_u32 s0, s0, 0xc4
	s_addc_u32 s1, s1, 0
	s_mul_i32 s2, s6, 12
	s_add_u32 s2, s4, s2
	s_addc_u32 s3, 0, s5
.LBB7_70:                               ; =>This Inner Loop Header: Depth=1
	s_load_dwordx2 s[8:9], s[2:3], 0x4
	s_load_dword s6, s[2:3], 0xc
	s_load_dwordx2 s[10:11], s[0:1], 0x0
	s_add_u32 s2, s2, 12
	s_addc_u32 s3, s3, 0
	s_waitcnt lgkmcnt(0)
	v_mul_hi_u32 v3, s9, v1
	v_add_u32_e32 v3, v1, v3
	v_lshrrev_b32_e32 v3, s6, v3
	v_mul_lo_u32 v5, v3, s8
	v_mov_b32_e32 v8, v7
	s_add_u32 s0, s0, 8
	v_sub_u32_e32 v5, v1, v5
	s_addc_u32 s1, s1, 0
	s_add_i32 s7, s7, -1
	v_mad_u64_u32 v[12:13], s[8:9], v5, s11, v[8:9]
	v_mad_u64_u32 v[6:7], s[8:9], v5, s10, v[6:7]
	s_cmp_lg_u32 s7, 0
	v_mov_b32_e32 v1, v3
	v_mov_b32_e32 v7, v12
	s_cbranch_scc1 .LBB7_70
; %bb.71:
	v_mov_b32_e32 v8, v7
	s_cbranch_execnz .LBB7_74
.LBB7_72:
	s_load_dwordx4 s[0:3], s[4:5], 0x4
	s_load_dwordx2 s[6:7], s[4:5], 0xc4
	s_cmp_lt_u32 s33, 2
	s_waitcnt lgkmcnt(0)
	v_mul_hi_u32 v1, s1, v9
	v_add_u32_e32 v1, v9, v1
	v_lshrrev_b32_e32 v1, s2, v1
	v_mul_lo_u32 v3, v1, s0
	v_sub_u32_e32 v3, v9, v3
	v_mul_lo_u32 v8, v3, s7
	v_mul_lo_u32 v6, v3, s6
	s_cbranch_scc1 .LBB7_74
; %bb.73:
	s_load_dwordx4 s[0:3], s[4:5], 0x10
	s_load_dwordx2 s[6:7], s[4:5], 0xcc
	s_waitcnt lgkmcnt(0)
	v_mul_hi_u32 v3, s1, v1
	v_add_u32_e32 v3, v1, v3
	v_lshrrev_b32_e32 v3, s2, v3
	v_mul_lo_u32 v3, v3, s0
	v_sub_u32_e32 v1, v1, v3
	v_mad_u64_u32 v[6:7], s[0:1], v1, s6, v[6:7]
	v_mad_u64_u32 v[8:9], s[0:1], v1, s7, v[8:9]
.LBB7_74:
	s_load_dwordx4 s[0:3], s[4:5], 0x148
	s_waitcnt lgkmcnt(0)
	global_load_dwordx2 v[18:19], v10, s[2:3]
	v_mov_b32_e32 v10, 0
	v_mov_b32_e32 v11, 0x7ff00000
	v_pk_mov_b32 v[12:13], v[10:11], v[10:11] op_sel:[0,1]
	s_waitcnt vmcnt(0)
	v_cmp_neq_f64_e32 vcc, 0, v[18:19]
	s_and_saveexec_b64 s[4:5], vcc
	s_cbranch_execz .LBB7_86
; %bb.75:
	v_mov_b32_e32 v12, 0
	v_cmp_ngt_f64_e32 vcc, 0, v[18:19]
	v_mov_b32_e32 v13, 0x7ff80000
	s_and_saveexec_b64 s[6:7], vcc
	s_cbranch_execz .LBB7_85
; %bb.76:
	v_cmp_ge_f64_e32 vcc, 2.0, v[18:19]
                                        ; implicit-def: $vgpr12_vgpr13
	s_and_saveexec_b64 s[8:9], vcc
	s_xor_b64 s[8:9], exec, s[8:9]
	s_cbranch_execz .LBB7_82
; %bb.77:
	s_mov_b32 s10, 0
	s_mov_b32 s11, 0x40200000
	v_mul_f64 v[12:13], v[18:19], 0.5
	v_cmp_ge_f64_e32 vcc, s[10:11], v[18:19]
                                        ; implicit-def: $vgpr20_vgpr21
	s_and_saveexec_b64 s[10:11], vcc
	s_xor_b64 s[10:11], exec, s[10:11]
	s_cbranch_execz .LBB7_79
; %bb.78:
	s_mov_b32 s12, 0x2134d0ef
	v_add_f64 v[20:21], v[12:13], -2.0
	v_mov_b32_e32 v22, 0x977da589
	v_mov_b32_e32 v23, 0x3c833362
	s_mov_b32 s13, 0xbc545cb7
	v_fmac_f64_e32 v[22:23], s[12:13], v[20:21]
	v_mov_b32_e32 v24, 0x2134d0ef
	v_mov_b32_e32 v25, 0x3c545cb7
	s_mov_b32 s12, 0x721ebbb4
	v_fmac_f64_e32 v[24:25], v[20:21], v[22:23]
	s_mov_b32 s13, 0xbcb184eb
	v_add_f64 v[24:25], v[24:25], s[12:13]
	s_mov_b32 s12, 0x93f65eba
	v_fma_f64 v[22:23], v[20:21], v[24:25], -v[22:23]
	s_mov_b32 s13, 0x3cdee6d8
	v_add_f64 v[22:23], v[22:23], s[12:13]
	s_mov_b32 s12, 0xc297fbeb
	v_fma_f64 v[24:25], v[20:21], v[22:23], -v[24:25]
	s_mov_b32 s13, 0xbd0a5022
	v_add_f64 v[24:25], v[24:25], s[12:13]
	s_mov_b32 s12, 0x4b262627
	v_fma_f64 v[22:23], v[20:21], v[24:25], -v[22:23]
	s_mov_b32 s13, 0x3d359b46
	v_add_f64 v[22:23], v[22:23], s[12:13]
	s_mov_b32 s12, 0x62ee1af0
	v_fma_f64 v[24:25], v[20:21], v[22:23], -v[24:25]
	s_mov_b32 s13, 0xbd61164c
	v_add_f64 v[24:25], v[24:25], s[12:13]
	s_mov_b32 s12, 0xe19bd324
	v_fma_f64 v[22:23], v[20:21], v[24:25], -v[22:23]
	s_mov_b32 s13, 0x3d89fe2f
	v_add_f64 v[22:23], v[22:23], s[12:13]
	s_mov_b32 s12, 0x7a946abc
	v_fma_f64 v[24:25], v[20:21], v[22:23], -v[24:25]
	s_mov_b32 s13, 0xbdb2fc95
	v_add_f64 v[24:25], v[24:25], s[12:13]
	s_mov_b32 s12, 0xcc743c10
	v_fma_f64 v[22:23], v[20:21], v[24:25], -v[22:23]
	s_mov_b32 s13, 0x3dda98be
	v_add_f64 v[22:23], v[22:23], s[12:13]
	s_mov_b32 s12, 0x13ae9556
	v_fma_f64 v[24:25], v[20:21], v[22:23], -v[24:25]
	s_mov_b32 s13, 0xbe01d4fe
	v_add_f64 v[24:25], v[24:25], s[12:13]
	s_mov_b32 s12, 0xa454cb34
	v_fma_f64 v[22:23], v[20:21], v[24:25], -v[22:23]
	s_mov_b32 s13, 0x3e26d903
	v_add_f64 v[22:23], v[22:23], s[12:13]
	s_mov_b32 s12, 0x8c0b30ab
	v_fma_f64 v[24:25], v[20:21], v[22:23], -v[24:25]
	s_mov_b32 s13, 0xbe4beaf6
	v_add_f64 v[24:25], v[24:25], s[12:13]
	s_mov_b32 s12, 0x9d4d6435
	v_fma_f64 v[22:23], v[20:21], v[24:25], -v[22:23]
	s_mov_b32 s13, 0x3e703b76
	v_add_f64 v[22:23], v[22:23], s[12:13]
	s_mov_b32 s12, 0x8f227f8d
	v_fma_f64 v[24:25], v[20:21], v[22:23], -v[24:25]
	s_mov_b32 s13, 0xbe91ec63
	v_add_f64 v[24:25], v[24:25], s[12:13]
	s_mov_b32 s12, 0x978cf4ac
	v_fma_f64 v[22:23], v[20:21], v[24:25], -v[22:23]
	s_mov_b32 s13, 0x3eb2bf24
	v_add_f64 v[22:23], v[22:23], s[12:13]
	s_mov_b32 s12, 0xcba56427
	v_fma_f64 v[24:25], v[20:21], v[22:23], -v[24:25]
	s_mov_b32 s13, 0xbed2866f
	v_add_f64 v[24:25], v[24:25], s[12:13]
	s_mov_b32 s12, 0xbe9a2859
	v_fma_f64 v[22:23], v[20:21], v[24:25], -v[22:23]
	s_mov_b32 s13, 0x3ef13f58
	v_add_f64 v[22:23], v[22:23], s[12:13]
	s_mov_b32 s12, 0x59c41d5a
	v_fma_f64 v[24:25], v[20:21], v[22:23], -v[24:25]
	s_mov_b32 s13, 0xbf0e2b26
	v_add_f64 v[24:25], v[24:25], s[12:13]
	s_mov_b32 s12, 0x74107cab
	v_fma_f64 v[22:23], v[20:21], v[24:25], -v[22:23]
	s_mov_b32 s13, 0x3f28b51b
	v_add_f64 v[22:23], v[22:23], s[12:13]
	s_mov_b32 s12, 0x1f15eb52
	v_fma_f64 v[24:25], v[20:21], v[22:23], -v[24:25]
	s_mov_b32 s13, 0xbf42e2fd
	v_add_f64 v[24:25], v[24:25], s[12:13]
	s_mov_b32 s12, 0x8a12100e
	v_fma_f64 v[22:23], v[20:21], v[24:25], -v[22:23]
	s_mov_b32 s13, 0x3f5adc75
	v_add_f64 v[22:23], v[22:23], s[12:13]
	s_mov_b32 s12, 0x201aa849
	v_fma_f64 v[24:25], v[20:21], v[22:23], -v[24:25]
	s_mov_b32 s13, 0xbf71b65e
	v_add_f64 v[24:25], v[24:25], s[12:13]
	s_mov_b32 s12, 0xf3dde3dd
	v_fma_f64 v[22:23], v[20:21], v[24:25], -v[22:23]
	s_mov_b32 s13, 0x3f859961
	v_add_f64 v[22:23], v[22:23], s[12:13]
	s_mov_b32 s12, 0xf121b6f0
	v_fma_f64 v[24:25], v[20:21], v[22:23], -v[24:25]
	s_mov_b32 s13, 0xbf984e9e
	v_add_f64 v[24:25], v[24:25], s[12:13]
	s_mov_b32 s12, 0xcea8a32d
	v_fma_f64 v[22:23], v[20:21], v[24:25], -v[22:23]
	s_mov_b32 s13, 0x3fa93e8a
	v_add_f64 v[22:23], v[22:23], s[12:13]
	s_mov_b32 s12, 0x342d06ea
	v_fma_f64 v[24:25], v[20:21], v[22:23], -v[24:25]
	s_mov_b32 s13, 0xbfb84b70
	v_add_f64 v[24:25], v[24:25], s[12:13]
	s_mov_b32 s12, 0x77ac88c0
	v_fma_f64 v[22:23], v[20:21], v[24:25], -v[22:23]
	s_mov_b32 s13, 0x3fc5f7ac
	v_add_f64 v[22:23], v[22:23], s[12:13]
	s_mov_b32 s12, 0xc057cd8d
	v_fma_f64 v[24:25], v[20:21], v[22:23], -v[24:25]
	s_mov_b32 s13, 0xbfd37feb
	v_add_f64 v[24:25], v[24:25], s[12:13]
	s_mov_b32 s12, 0x9035a22a
	v_fma_f64 v[20:21], v[20:21], v[24:25], -v[22:23]
	s_mov_b32 s13, 0x3fe5a84e
	v_add_f64 v[20:21], v[20:21], s[12:13]
	s_mov_b32 s12, 0x652b82fe
	s_mov_b32 s13, 0x3ff71547
	v_mul_f64 v[24:25], v[18:19], s[12:13]
	s_mov_b32 s12, 0xfefa39ef
	v_rndne_f64_e32 v[24:25], v[24:25]
	s_mov_b32 s13, 0xbfe62e42
	v_fma_f64 v[26:27], s[12:13], v[24:25], v[18:19]
	s_mov_b32 s12, 0x3b39803f
	s_mov_b32 s13, 0xbc7abc9e
	v_fmac_f64_e32 v[26:27], s[12:13], v[24:25]
	s_mov_b32 s12, 0x6a5dcb37
	v_mov_b32_e32 v28, 0xfca7ab0c
	v_mov_b32_e32 v29, 0x3e928af3
	s_mov_b32 s13, 0x3e5ade15
	v_fmac_f64_e32 v[28:29], s[12:13], v[26:27]
	v_mov_b32_e32 v30, 0x623fde64
	v_mov_b32_e32 v31, 0x3ec71dee
	v_fmac_f64_e32 v[30:31], v[26:27], v[28:29]
	v_mov_b32_e32 v28, 0x7c89e6b0
	v_mov_b32_e32 v29, 0x3efa0199
	v_fmac_f64_e32 v[28:29], v[26:27], v[30:31]
	v_mov_b32_e32 v30, 0x14761f6e
	v_mov_b32_e32 v31, 0x3f2a01a0
	v_fmac_f64_e32 v[30:31], v[26:27], v[28:29]
	v_mov_b32_e32 v28, 0x1852b7b0
	v_mov_b32_e32 v29, 0x3f56c16c
	v_fmac_f64_e32 v[28:29], v[26:27], v[30:31]
	v_mov_b32_e32 v30, 0x11122322
	v_mov_b32_e32 v31, 0x3f811111
	v_fmac_f64_e32 v[30:31], v[26:27], v[28:29]
	v_mov_b32_e32 v28, 0x555502a1
	v_mov_b32_e32 v29, 0x3fa55555
	v_fmac_f64_e32 v[28:29], v[26:27], v[30:31]
	v_mov_b32_e32 v30, 0x55555511
	v_mov_b32_e32 v31, 0x3fc55555
	v_fmac_f64_e32 v[30:31], v[26:27], v[28:29]
	v_mov_b32_e32 v28, 11
	v_mov_b32_e32 v29, 0x3fe00000
	v_fmac_f64_e32 v[28:29], v[26:27], v[30:31]
	v_fma_f64 v[28:29], v[26:27], v[28:29], 1.0
	s_mov_b32 s12, 0
	v_fma_f64 v[26:27], v[26:27], v[28:29], 1.0
	v_cvt_i32_f64_e32 v1, v[24:25]
	s_mov_b32 s13, 0x40900000
	v_ldexp_f64 v[24:25], v[26:27], v1
	v_mov_b32_e32 v1, 0x7ff00000
	v_cmp_nlt_f64_e32 vcc, s[12:13], v[18:19]
	v_add_f64 v[20:21], v[20:21], -v[22:23]
	v_cndmask_b32_e32 v25, v1, v25, vcc
	v_cndmask_b32_e32 v24, 0, v24, vcc
	v_mul_f64 v[20:21], v[20:21], 0.5
	v_mul_f64 v[20:21], v[24:25], v[20:21]
.LBB7_79:
	s_andn2_saveexec_b64 s[10:11], s[10:11]
	s_cbranch_execz .LBB7_81
; %bb.80:
	s_mov_b32 s12, 0
	s_mov_b32 s13, 0x40400000
	v_div_scale_f64 v[20:21], s[14:15], v[18:19], v[18:19], s[12:13]
	v_rcp_f64_e32 v[22:23], v[20:21]
	v_mov_b32_e32 v28, 0xfca7ab0c
	v_mov_b32_e32 v29, 0x3e928af3
	;; [unrolled: 1-line block ×3, first 2 shown]
	v_fma_f64 v[24:25], -v[20:21], v[22:23], 1.0
	v_fmac_f64_e32 v[22:23], v[22:23], v[24:25]
	v_fma_f64 v[24:25], -v[20:21], v[22:23], 1.0
	v_fmac_f64_e32 v[22:23], v[22:23], v[24:25]
	v_div_scale_f64 v[24:25], vcc, s[12:13], v[18:19], s[12:13]
	v_mul_f64 v[26:27], v[24:25], v[22:23]
	v_fma_f64 v[20:21], -v[20:21], v[26:27], v[24:25]
	v_mov_b32_e32 v24, 0x54ca8b19
	s_nop 0
	v_div_fmas_f64 v[20:21], v[20:21], v[22:23], v[26:27]
	v_div_fixup_f64 v[20:21], v[20:21], v[18:19], s[12:13]
	s_mov_b32 s12, 0x54ca8b19
	v_add_f64 v[20:21], v[20:21], -2.0
	v_mov_b32_e32 v22, 0x66119130
	v_mov_b32_e32 v23, 0xbc5646da
	s_mov_b32 s13, 0xbc60adb7
	v_fmac_f64_e32 v[22:23], s[12:13], v[20:21]
	v_mov_b32_e32 v25, 0x3c60adb7
	s_mov_b32 s12, 0x12d98421
	v_fmac_f64_e32 v[24:25], v[20:21], v[22:23]
	s_mov_b32 s13, 0x3c89be18
	v_add_f64 v[24:25], v[24:25], s[12:13]
	s_mov_b32 s12, 0x76041cd
	v_fma_f64 v[22:23], v[20:21], v[24:25], -v[22:23]
	s_mov_b32 s13, 0x3c83f3dd
	v_add_f64 v[22:23], v[22:23], s[12:13]
	s_mov_b32 s12, 0xabd21fe4
	v_fma_f64 v[24:25], v[20:21], v[22:23], -v[24:25]
	;; [unrolled: 4-line block ×22, first 2 shown]
	s_mov_b32 s13, 0x3fe9be62
	v_add_f64 v[20:21], v[20:21], s[12:13]
	s_mov_b32 s12, 0x652b82fe
	s_mov_b32 s13, 0x3ff71547
	v_mul_f64 v[22:23], v[18:19], s[12:13]
	s_mov_b32 s12, 0xfefa39ef
	v_rndne_f64_e32 v[22:23], v[22:23]
	s_mov_b32 s13, 0xbfe62e42
	v_fma_f64 v[26:27], s[12:13], v[22:23], v[18:19]
	s_mov_b32 s12, 0x3b39803f
	s_mov_b32 s13, 0xbc7abc9e
	v_fmac_f64_e32 v[26:27], s[12:13], v[22:23]
	s_mov_b32 s12, 0x6a5dcb37
	s_mov_b32 s13, 0x3e5ade15
	v_fmac_f64_e32 v[28:29], s[12:13], v[26:27]
	v_mov_b32_e32 v31, 0x3ec71dee
	v_fmac_f64_e32 v[30:31], v[26:27], v[28:29]
	v_mov_b32_e32 v28, 0x7c89e6b0
	v_mov_b32_e32 v29, 0x3efa0199
	v_fmac_f64_e32 v[28:29], v[26:27], v[30:31]
	v_mov_b32_e32 v30, 0x14761f6e
	;; [unrolled: 3-line block ×7, first 2 shown]
	v_mov_b32_e32 v29, 0x3fe00000
	v_fmac_f64_e32 v[28:29], v[26:27], v[30:31]
	s_mov_b32 s12, 0
	v_fma_f64 v[28:29], v[26:27], v[28:29], 1.0
	s_mov_b32 s13, 0x40900000
	v_fma_f64 v[26:27], v[26:27], v[28:29], 1.0
	v_cvt_i32_f64_e32 v1, v[22:23]
	v_cmp_nlt_f64_e32 vcc, s[12:13], v[18:19]
	s_mov_b32 s12, 0
	v_ldexp_f64 v[22:23], v[26:27], v1
	v_mov_b32_e32 v1, 0x7ff00000
	s_brev_b32 s13, 8
	v_cndmask_b32_e32 v23, v1, v23, vcc
	v_cndmask_b32_e32 v22, 0, v22, vcc
	v_cmp_gt_f64_e32 vcc, s[12:13], v[18:19]
	v_cndmask_b32_e64 v1, 0, 1, vcc
	v_lshlrev_b32_e32 v1, 8, v1
	v_ldexp_f64 v[26:27], v[18:19], v1
	v_rsq_f64_e32 v[28:29], v[26:27]
	v_add_f64 v[20:21], v[20:21], -v[24:25]
	v_mul_f64 v[20:21], v[20:21], 0.5
	v_mul_f64 v[20:21], v[22:23], v[20:21]
	v_mul_f64 v[22:23], v[26:27], v[28:29]
	v_mul_f64 v[24:25], v[28:29], 0.5
	v_fma_f64 v[28:29], -v[24:25], v[22:23], 0.5
	v_fmac_f64_e32 v[22:23], v[22:23], v[28:29]
	v_fma_f64 v[30:31], -v[22:23], v[22:23], v[26:27]
	v_fmac_f64_e32 v[24:25], v[24:25], v[28:29]
	v_fmac_f64_e32 v[22:23], v[30:31], v[24:25]
	v_fma_f64 v[28:29], -v[22:23], v[22:23], v[26:27]
	v_mov_b32_e32 v1, 0xffffff80
	v_fmac_f64_e32 v[22:23], v[28:29], v[24:25]
	v_cndmask_b32_e32 v1, 0, v1, vcc
	v_ldexp_f64 v[22:23], v[22:23], v1
	v_mov_b32_e32 v1, 0x260
	v_cmp_class_f64_e32 vcc, v[26:27], v1
	v_cndmask_b32_e32 v23, v23, v27, vcc
	v_cndmask_b32_e32 v22, v22, v26, vcc
	v_div_scale_f64 v[24:25], s[12:13], v[22:23], v[22:23], v[20:21]
	v_rcp_f64_e32 v[26:27], v[24:25]
	v_fma_f64 v[28:29], -v[24:25], v[26:27], 1.0
	v_fmac_f64_e32 v[26:27], v[26:27], v[28:29]
	v_fma_f64 v[28:29], -v[24:25], v[26:27], 1.0
	v_fmac_f64_e32 v[26:27], v[26:27], v[28:29]
	v_div_scale_f64 v[28:29], vcc, v[20:21], v[22:23], v[20:21]
	v_mul_f64 v[30:31], v[28:29], v[26:27]
	v_fma_f64 v[24:25], -v[24:25], v[30:31], v[28:29]
	s_nop 1
	v_div_fmas_f64 v[24:25], v[24:25], v[26:27], v[30:31]
	v_div_fixup_f64 v[20:21], v[24:25], v[22:23], v[20:21]
.LBB7_81:
	s_or_b64 exec, exec, s[10:11]
	s_mov_b32 s10, 0xe6a7fd77
	v_fma_f64 v[18:19], v[18:19], v[18:19], -2.0
	v_mov_b32_e32 v22, 0xc384c2aa
	v_mov_b32_e32 v23, 0x3d27fb0a
	s_mov_b32 s11, 0x3ca3cee1
	v_fmac_f64_e32 v[22:23], s[10:11], v[18:19]
	v_mov_b32_e32 v24, 0xe6a7fd77
	v_mov_b32_e32 v25, 0xbca3cee1
	s_mov_b32 s10, 0x47512144
	v_fmac_f64_e32 v[24:25], v[18:19], v[22:23]
	s_mov_b32 s11, 0x3da6c25c
	v_add_f64 v[24:25], v[24:25], s[10:11]
	s_mov_b32 s10, 0x67e58a13
	v_fma_f64 v[22:23], v[18:19], v[24:25], -v[22:23]
	s_mov_b32 s11, 0x3e205c13
	v_add_f64 v[22:23], v[22:23], s[10:11]
	s_mov_b32 s10, 0xe7f95efc
	v_fma_f64 v[24:25], v[18:19], v[22:23], -v[24:25]
	;; [unrolled: 4-line block ×7, first 2 shown]
	s_mov_b32 s11, 0xbfe12166
	v_add_f64 v[18:19], v[18:19], s[10:11]
	s_mov_b32 s10, 0x55555555
	v_add_f64 v[18:19], v[18:19], -v[22:23]
	v_frexp_mant_f64_e32 v[22:23], v[12:13]
	s_mov_b32 s11, 0x3fe55555
	v_mov_b32_e32 v3, 0x3ff00000
	v_cmp_gt_f64_e32 vcc, s[10:11], v[22:23]
	v_cndmask_b32_e64 v25, v3, 2.0, vcc
	v_mov_b32_e32 v24, 0
	v_mul_f64 v[22:23], v[22:23], v[24:25]
	v_add_f64 v[24:25], v[22:23], 1.0
	v_rcp_f64_e32 v[26:27], v[24:25]
	v_add_f64 v[30:31], v[24:25], -1.0
	v_add_f64 v[28:29], v[22:23], -1.0
	v_add_f64 v[22:23], v[22:23], -v[30:31]
	v_fma_f64 v[30:31], -v[24:25], v[26:27], 1.0
	v_fmac_f64_e32 v[26:27], v[30:31], v[26:27]
	v_fma_f64 v[30:31], -v[24:25], v[26:27], 1.0
	v_fmac_f64_e32 v[26:27], v[30:31], v[26:27]
	v_mul_f64 v[30:31], v[28:29], v[26:27]
	v_mul_f64 v[32:33], v[24:25], v[30:31]
	v_fma_f64 v[24:25], v[30:31], v[24:25], -v[32:33]
	v_fmac_f64_e32 v[24:25], v[30:31], v[22:23]
	v_add_f64 v[22:23], v[32:33], v[24:25]
	v_add_f64 v[34:35], v[28:29], -v[22:23]
	v_add_f64 v[32:33], v[22:23], -v[32:33]
	v_add_f64 v[28:29], v[28:29], -v[34:35]
	v_add_f64 v[22:23], v[28:29], -v[22:23]
	v_add_f64 v[24:25], v[32:33], -v[24:25]
	v_add_f64 v[22:23], v[24:25], v[22:23]
	v_add_f64 v[22:23], v[34:35], v[22:23]
	v_mul_f64 v[22:23], v[26:27], v[22:23]
	v_add_f64 v[24:25], v[30:31], v[22:23]
	v_add_f64 v[26:27], v[24:25], -v[30:31]
	s_mov_b32 s10, 0xbf559e2b
	v_add_f64 v[22:23], v[22:23], -v[26:27]
	v_mul_f64 v[26:27], v[24:25], v[24:25]
	v_mov_b32_e32 v28, 0x6b47b09a
	v_mov_b32_e32 v29, 0x3fc38538
	s_mov_b32 s11, 0x3fc3ab76
	v_fmac_f64_e32 v[28:29], s[10:11], v[26:27]
	v_mov_b32_e32 v30, 0xd7f4df2e
	v_mov_b32_e32 v31, 0x3fc7474d
	v_fmac_f64_e32 v[30:31], v[26:27], v[28:29]
	v_mov_b32_e32 v28, 0x16291751
	v_mov_b32_e32 v29, 0x3fcc71c0
	;; [unrolled: 3-line block ×5, first 2 shown]
	v_fmac_f64_e32 v[30:31], v[26:27], v[28:29]
	v_ldexp_f64 v[28:29], v[24:25], 1
	v_mul_f64 v[24:25], v[24:25], v[26:27]
	v_mul_f64 v[24:25], v[24:25], v[30:31]
	v_add_f64 v[26:27], v[28:29], v[24:25]
	v_add_f64 v[28:29], v[26:27], -v[28:29]
	v_ldexp_f64 v[22:23], v[22:23], 1
	v_add_f64 v[24:25], v[24:25], -v[28:29]
	v_add_f64 v[22:23], v[22:23], v[24:25]
	v_frexp_exp_i32_f64_e32 v1, v[12:13]
	v_add_f64 v[24:25], v[26:27], v[22:23]
	v_subbrev_co_u32_e32 v1, vcc, 0, v1, vcc
	v_add_f64 v[26:27], v[24:25], -v[26:27]
	s_mov_b32 s10, 0xfefa39ef
	v_add_f64 v[22:23], v[22:23], -v[26:27]
	v_cvt_f64_i32_e32 v[26:27], v1
	s_mov_b32 s11, 0x3fe62e42
	v_mul_f64 v[28:29], v[26:27], s[10:11]
	v_fma_f64 v[30:31], v[26:27], s[10:11], -v[28:29]
	s_mov_b32 s10, 0x3b39803f
	s_mov_b32 s11, 0x3c7abc9e
	v_fmac_f64_e32 v[30:31], s[10:11], v[26:27]
	v_add_f64 v[26:27], v[28:29], v[30:31]
	v_add_f64 v[28:29], v[26:27], -v[28:29]
	v_add_f64 v[28:29], v[30:31], -v[28:29]
	v_add_f64 v[30:31], v[26:27], v[24:25]
	v_add_f64 v[32:33], v[30:31], -v[26:27]
	v_add_f64 v[34:35], v[30:31], -v[32:33]
	;; [unrolled: 1-line block ×4, first 2 shown]
	v_add_f64 v[24:25], v[24:25], v[26:27]
	v_add_f64 v[26:27], v[28:29], v[22:23]
	v_add_f64 v[32:33], v[26:27], -v[28:29]
	v_add_f64 v[34:35], v[26:27], -v[32:33]
	v_add_f64 v[24:25], v[26:27], v[24:25]
	v_add_f64 v[28:29], v[28:29], -v[34:35]
	v_add_f64 v[22:23], v[22:23], -v[32:33]
	v_add_f64 v[26:27], v[30:31], v[24:25]
	v_add_f64 v[22:23], v[22:23], v[28:29]
	v_add_f64 v[28:29], v[26:27], -v[30:31]
	v_add_f64 v[24:25], v[24:25], -v[28:29]
	s_mov_b32 s10, 0
	v_add_f64 v[22:23], v[22:23], v[24:25]
	s_mov_b32 s11, 0x7ff00000
	v_add_f64 v[22:23], v[26:27], v[22:23]
	v_cmp_eq_f64_e32 vcc, s[10:11], v[12:13]
	v_cndmask_b32_e32 v1, v22, v12, vcc
	v_cndmask_b32_e32 v3, v23, v13, vcc
	v_mov_b32_e32 v5, 0xfff00000
	v_cmp_neq_f64_e32 vcc, 0, v[12:13]
	v_cndmask_b32_e32 v13, v5, v3, vcc
	v_cndmask_b32_e32 v12, 0, v1, vcc
	v_mul_f64 v[12:13], v[12:13], v[20:21]
	v_fma_f64 v[12:13], v[18:19], 0.5, -v[12:13]
                                        ; implicit-def: $vgpr18_vgpr19
.LBB7_82:
	s_andn2_saveexec_b64 s[8:9], s[8:9]
	s_cbranch_execz .LBB7_84
; %bb.83:
	s_mov_b32 s10, 0
	s_mov_b32 s11, 0x40200000
	v_div_scale_f64 v[12:13], s[12:13], v[18:19], v[18:19], s[10:11]
	v_rcp_f64_e32 v[20:21], v[12:13]
	v_mov_b32_e32 v26, 0xfca7ab0c
	v_mov_b32_e32 v27, 0x3e928af3
	;; [unrolled: 1-line block ×3, first 2 shown]
	v_fma_f64 v[22:23], -v[12:13], v[20:21], 1.0
	v_fmac_f64_e32 v[20:21], v[20:21], v[22:23]
	v_fma_f64 v[22:23], -v[12:13], v[20:21], 1.0
	v_fmac_f64_e32 v[20:21], v[20:21], v[22:23]
	v_div_scale_f64 v[22:23], vcc, s[10:11], v[18:19], s[10:11]
	v_mul_f64 v[24:25], v[22:23], v[20:21]
	v_fma_f64 v[12:13], -v[12:13], v[24:25], v[22:23]
	v_mov_b32_e32 v22, 0xcf8c9ee1
	s_nop 0
	v_div_fmas_f64 v[12:13], v[12:13], v[20:21], v[24:25]
	v_div_fixup_f64 v[12:13], v[12:13], v[18:19], s[10:11]
	s_mov_b32 s10, 0xcf8c9ee1
	v_add_f64 v[12:13], v[12:13], -2.0
	v_mov_b32_e32 v20, 0x93812603
	v_mov_b32_e32 v21, 0xbc72fecc
	s_mov_b32 s11, 0x3c5871a5
	v_fmac_f64_e32 v[20:21], s[10:11], v[12:13]
	v_mov_b32_e32 v23, 0xbc5871a5
	s_mov_b32 s10, 0x41a8cdf4
	v_fmac_f64_e32 v[22:23], v[12:13], v[20:21]
	s_mov_b32 s11, 0x3c8e092e
	v_add_f64 v[22:23], v[22:23], s[10:11]
	s_mov_b32 s10, 0x74d77641
	v_fma_f64 v[20:21], v[12:13], v[22:23], -v[20:21]
	s_mov_b32 s11, 0xbca82f94
	v_add_f64 v[20:21], v[20:21], s[10:11]
	s_mov_b32 s10, 0x6b94785b
	v_fma_f64 v[22:23], v[12:13], v[20:21], -v[22:23]
	;; [unrolled: 4-line block ×22, first 2 shown]
	s_mov_b32 s11, 0x400385bd
	v_add_f64 v[12:13], v[12:13], s[10:11]
	s_mov_b32 s10, 0x652b82fe
	s_mov_b32 s11, 0xbff71547
	v_mul_f64 v[20:21], v[18:19], s[10:11]
	s_mov_b32 s10, 0xfefa39ef
	v_rndne_f64_e32 v[20:21], v[20:21]
	s_mov_b32 s11, 0xbfe62e42
	v_fma_f64 v[24:25], v[20:21], s[10:11], -v[18:19]
	s_mov_b32 s10, 0x3b39803f
	s_mov_b32 s11, 0xbc7abc9e
	v_fmac_f64_e32 v[24:25], s[10:11], v[20:21]
	s_mov_b32 s10, 0x6a5dcb37
	s_mov_b32 s11, 0x3e5ade15
	v_fmac_f64_e32 v[26:27], s[10:11], v[24:25]
	v_mov_b32_e32 v29, 0x3ec71dee
	v_fmac_f64_e32 v[28:29], v[24:25], v[26:27]
	v_mov_b32_e32 v26, 0x7c89e6b0
	v_mov_b32_e32 v27, 0x3efa0199
	v_fmac_f64_e32 v[26:27], v[24:25], v[28:29]
	v_mov_b32_e32 v28, 0x14761f6e
	;; [unrolled: 3-line block ×7, first 2 shown]
	v_mov_b32_e32 v27, 0x3fe00000
	v_fmac_f64_e32 v[26:27], v[24:25], v[28:29]
	s_mov_b32 s10, 0
	v_fma_f64 v[26:27], v[24:25], v[26:27], 1.0
	s_mov_b32 s11, 0x4090cc00
	v_fma_f64 v[24:25], v[24:25], v[26:27], 1.0
	v_cvt_i32_f64_e32 v1, v[20:21]
	v_cmp_nlt_f64_e32 vcc, s[10:11], v[18:19]
	s_mov_b32 s10, 0
	v_ldexp_f64 v[20:21], v[24:25], v1
	s_brev_b32 s11, 8
	v_cndmask_b32_e32 v21, 0, v21, vcc
	v_cndmask_b32_e32 v20, 0, v20, vcc
	v_cmp_gt_f64_e32 vcc, s[10:11], v[18:19]
	v_cndmask_b32_e64 v1, 0, 1, vcc
	v_lshlrev_b32_e32 v1, 8, v1
	v_ldexp_f64 v[18:19], v[18:19], v1
	v_rsq_f64_e32 v[24:25], v[18:19]
	v_add_f64 v[12:13], v[12:13], -v[22:23]
	v_mul_f64 v[12:13], v[12:13], 0.5
	v_mul_f64 v[12:13], v[20:21], v[12:13]
	v_mul_f64 v[20:21], v[18:19], v[24:25]
	v_mul_f64 v[22:23], v[24:25], 0.5
	v_fma_f64 v[24:25], -v[22:23], v[20:21], 0.5
	v_fmac_f64_e32 v[20:21], v[20:21], v[24:25]
	v_fma_f64 v[26:27], -v[20:21], v[20:21], v[18:19]
	v_fmac_f64_e32 v[22:23], v[22:23], v[24:25]
	v_fmac_f64_e32 v[20:21], v[26:27], v[22:23]
	v_fma_f64 v[24:25], -v[20:21], v[20:21], v[18:19]
	v_mov_b32_e32 v1, 0xffffff80
	v_fmac_f64_e32 v[20:21], v[24:25], v[22:23]
	v_cndmask_b32_e32 v1, 0, v1, vcc
	v_ldexp_f64 v[20:21], v[20:21], v1
	v_mov_b32_e32 v1, 0x260
	v_cmp_class_f64_e32 vcc, v[18:19], v1
	v_cndmask_b32_e32 v19, v21, v19, vcc
	v_cndmask_b32_e32 v18, v20, v18, vcc
	v_div_scale_f64 v[20:21], s[10:11], v[18:19], v[18:19], v[12:13]
	v_rcp_f64_e32 v[22:23], v[20:21]
	v_fma_f64 v[24:25], -v[20:21], v[22:23], 1.0
	v_fmac_f64_e32 v[22:23], v[22:23], v[24:25]
	v_fma_f64 v[24:25], -v[20:21], v[22:23], 1.0
	v_fmac_f64_e32 v[22:23], v[22:23], v[24:25]
	v_div_scale_f64 v[24:25], vcc, v[12:13], v[18:19], v[12:13]
	v_mul_f64 v[26:27], v[24:25], v[22:23]
	v_fma_f64 v[20:21], -v[20:21], v[26:27], v[24:25]
	s_nop 1
	v_div_fmas_f64 v[20:21], v[20:21], v[22:23], v[26:27]
	v_div_fixup_f64 v[12:13], v[20:21], v[18:19], v[12:13]
.LBB7_84:
	s_or_b64 exec, exec, s[8:9]
.LBB7_85:
	s_or_b64 exec, exec, s[6:7]
.LBB7_86:
	s_or_b64 exec, exec, s[4:5]
	global_load_dwordx2 v[16:17], v16, s[2:3]
	s_waitcnt vmcnt(0)
	v_cmp_neq_f64_e32 vcc, 0, v[16:17]
	s_and_saveexec_b64 s[4:5], vcc
	s_cbranch_execz .LBB7_98
; %bb.87:
	v_mov_b32_e32 v10, 0
	v_cmp_ngt_f64_e32 vcc, 0, v[16:17]
	v_mov_b32_e32 v11, 0x7ff80000
	s_and_saveexec_b64 s[6:7], vcc
	s_cbranch_execz .LBB7_97
; %bb.88:
	v_cmp_ge_f64_e32 vcc, 2.0, v[16:17]
                                        ; implicit-def: $vgpr10_vgpr11
	s_and_saveexec_b64 s[8:9], vcc
	s_xor_b64 s[8:9], exec, s[8:9]
	s_cbranch_execz .LBB7_94
; %bb.89:
	s_mov_b32 s10, 0
	s_mov_b32 s11, 0x40200000
	v_mul_f64 v[10:11], v[16:17], 0.5
	v_cmp_ge_f64_e32 vcc, s[10:11], v[16:17]
                                        ; implicit-def: $vgpr18_vgpr19
	s_and_saveexec_b64 s[10:11], vcc
	s_xor_b64 s[10:11], exec, s[10:11]
	s_cbranch_execz .LBB7_91
; %bb.90:
	s_mov_b32 s12, 0x2134d0ef
	v_add_f64 v[18:19], v[10:11], -2.0
	v_mov_b32_e32 v20, 0x977da589
	v_mov_b32_e32 v21, 0x3c833362
	s_mov_b32 s13, 0xbc545cb7
	v_fmac_f64_e32 v[20:21], s[12:13], v[18:19]
	v_mov_b32_e32 v22, 0x2134d0ef
	v_mov_b32_e32 v23, 0x3c545cb7
	s_mov_b32 s12, 0x721ebbb4
	v_fmac_f64_e32 v[22:23], v[18:19], v[20:21]
	s_mov_b32 s13, 0xbcb184eb
	v_add_f64 v[22:23], v[22:23], s[12:13]
	s_mov_b32 s12, 0x93f65eba
	v_fma_f64 v[20:21], v[18:19], v[22:23], -v[20:21]
	s_mov_b32 s13, 0x3cdee6d8
	v_add_f64 v[20:21], v[20:21], s[12:13]
	s_mov_b32 s12, 0xc297fbeb
	v_fma_f64 v[22:23], v[18:19], v[20:21], -v[22:23]
	;; [unrolled: 4-line block ×27, first 2 shown]
	s_mov_b32 s13, 0x3fe5a84e
	v_add_f64 v[18:19], v[18:19], s[12:13]
	s_mov_b32 s12, 0x652b82fe
	s_mov_b32 s13, 0x3ff71547
	v_mul_f64 v[22:23], v[16:17], s[12:13]
	s_mov_b32 s12, 0xfefa39ef
	v_rndne_f64_e32 v[22:23], v[22:23]
	s_mov_b32 s13, 0xbfe62e42
	v_fma_f64 v[24:25], s[12:13], v[22:23], v[16:17]
	s_mov_b32 s12, 0x3b39803f
	s_mov_b32 s13, 0xbc7abc9e
	v_fmac_f64_e32 v[24:25], s[12:13], v[22:23]
	s_mov_b32 s12, 0x6a5dcb37
	v_mov_b32_e32 v26, 0xfca7ab0c
	v_mov_b32_e32 v27, 0x3e928af3
	s_mov_b32 s13, 0x3e5ade15
	v_fmac_f64_e32 v[26:27], s[12:13], v[24:25]
	v_mov_b32_e32 v28, 0x623fde64
	v_mov_b32_e32 v29, 0x3ec71dee
	v_fmac_f64_e32 v[28:29], v[24:25], v[26:27]
	v_mov_b32_e32 v26, 0x7c89e6b0
	v_mov_b32_e32 v27, 0x3efa0199
	;; [unrolled: 3-line block ×8, first 2 shown]
	v_fmac_f64_e32 v[26:27], v[24:25], v[28:29]
	v_fma_f64 v[26:27], v[24:25], v[26:27], 1.0
	s_mov_b32 s12, 0
	v_fma_f64 v[24:25], v[24:25], v[26:27], 1.0
	v_cvt_i32_f64_e32 v1, v[22:23]
	s_mov_b32 s13, 0x40900000
	v_ldexp_f64 v[22:23], v[24:25], v1
	v_mov_b32_e32 v1, 0x7ff00000
	v_cmp_nlt_f64_e32 vcc, s[12:13], v[16:17]
	v_add_f64 v[18:19], v[18:19], -v[20:21]
	v_cndmask_b32_e32 v23, v1, v23, vcc
	v_cndmask_b32_e32 v22, 0, v22, vcc
	v_mul_f64 v[18:19], v[18:19], 0.5
	v_mul_f64 v[18:19], v[22:23], v[18:19]
.LBB7_91:
	s_andn2_saveexec_b64 s[10:11], s[10:11]
	s_cbranch_execz .LBB7_93
; %bb.92:
	s_mov_b32 s12, 0
	s_mov_b32 s13, 0x40400000
	v_div_scale_f64 v[18:19], s[14:15], v[16:17], v[16:17], s[12:13]
	v_rcp_f64_e32 v[20:21], v[18:19]
	v_mov_b32_e32 v26, 0xfca7ab0c
	v_mov_b32_e32 v27, 0x3e928af3
	;; [unrolled: 1-line block ×3, first 2 shown]
	v_fma_f64 v[22:23], -v[18:19], v[20:21], 1.0
	v_fmac_f64_e32 v[20:21], v[20:21], v[22:23]
	v_fma_f64 v[22:23], -v[18:19], v[20:21], 1.0
	v_fmac_f64_e32 v[20:21], v[20:21], v[22:23]
	v_div_scale_f64 v[22:23], vcc, s[12:13], v[16:17], s[12:13]
	v_mul_f64 v[24:25], v[22:23], v[20:21]
	v_fma_f64 v[18:19], -v[18:19], v[24:25], v[22:23]
	v_mov_b32_e32 v22, 0x54ca8b19
	s_nop 0
	v_div_fmas_f64 v[18:19], v[18:19], v[20:21], v[24:25]
	v_div_fixup_f64 v[18:19], v[18:19], v[16:17], s[12:13]
	s_mov_b32 s12, 0x54ca8b19
	v_add_f64 v[18:19], v[18:19], -2.0
	v_mov_b32_e32 v20, 0x66119130
	v_mov_b32_e32 v21, 0xbc5646da
	s_mov_b32 s13, 0xbc60adb7
	v_fmac_f64_e32 v[20:21], s[12:13], v[18:19]
	v_mov_b32_e32 v23, 0x3c60adb7
	s_mov_b32 s12, 0x12d98421
	v_fmac_f64_e32 v[22:23], v[18:19], v[20:21]
	s_mov_b32 s13, 0x3c89be18
	v_add_f64 v[22:23], v[22:23], s[12:13]
	s_mov_b32 s12, 0x76041cd
	v_fma_f64 v[20:21], v[18:19], v[22:23], -v[20:21]
	s_mov_b32 s13, 0x3c83f3dd
	v_add_f64 v[20:21], v[20:21], s[12:13]
	s_mov_b32 s12, 0xabd21fe4
	v_fma_f64 v[22:23], v[18:19], v[20:21], -v[22:23]
	;; [unrolled: 4-line block ×22, first 2 shown]
	s_mov_b32 s13, 0x3fe9be62
	v_add_f64 v[18:19], v[18:19], s[12:13]
	s_mov_b32 s12, 0x652b82fe
	s_mov_b32 s13, 0x3ff71547
	v_mul_f64 v[20:21], v[16:17], s[12:13]
	s_mov_b32 s12, 0xfefa39ef
	v_rndne_f64_e32 v[20:21], v[20:21]
	s_mov_b32 s13, 0xbfe62e42
	v_fma_f64 v[24:25], s[12:13], v[20:21], v[16:17]
	s_mov_b32 s12, 0x3b39803f
	s_mov_b32 s13, 0xbc7abc9e
	v_fmac_f64_e32 v[24:25], s[12:13], v[20:21]
	s_mov_b32 s12, 0x6a5dcb37
	s_mov_b32 s13, 0x3e5ade15
	v_fmac_f64_e32 v[26:27], s[12:13], v[24:25]
	v_mov_b32_e32 v29, 0x3ec71dee
	v_fmac_f64_e32 v[28:29], v[24:25], v[26:27]
	v_mov_b32_e32 v26, 0x7c89e6b0
	v_mov_b32_e32 v27, 0x3efa0199
	v_fmac_f64_e32 v[26:27], v[24:25], v[28:29]
	v_mov_b32_e32 v28, 0x14761f6e
	;; [unrolled: 3-line block ×7, first 2 shown]
	v_mov_b32_e32 v27, 0x3fe00000
	v_fmac_f64_e32 v[26:27], v[24:25], v[28:29]
	s_mov_b32 s12, 0
	v_fma_f64 v[26:27], v[24:25], v[26:27], 1.0
	s_mov_b32 s13, 0x40900000
	v_fma_f64 v[24:25], v[24:25], v[26:27], 1.0
	v_cvt_i32_f64_e32 v1, v[20:21]
	v_cmp_nlt_f64_e32 vcc, s[12:13], v[16:17]
	s_mov_b32 s12, 0
	v_ldexp_f64 v[20:21], v[24:25], v1
	v_mov_b32_e32 v1, 0x7ff00000
	s_brev_b32 s13, 8
	v_cndmask_b32_e32 v21, v1, v21, vcc
	v_cndmask_b32_e32 v20, 0, v20, vcc
	v_cmp_gt_f64_e32 vcc, s[12:13], v[16:17]
	v_cndmask_b32_e64 v1, 0, 1, vcc
	v_lshlrev_b32_e32 v1, 8, v1
	v_ldexp_f64 v[24:25], v[16:17], v1
	v_rsq_f64_e32 v[26:27], v[24:25]
	v_add_f64 v[18:19], v[18:19], -v[22:23]
	v_mul_f64 v[18:19], v[18:19], 0.5
	v_mul_f64 v[18:19], v[20:21], v[18:19]
	v_mul_f64 v[20:21], v[24:25], v[26:27]
	v_mul_f64 v[22:23], v[26:27], 0.5
	v_fma_f64 v[26:27], -v[22:23], v[20:21], 0.5
	v_fmac_f64_e32 v[20:21], v[20:21], v[26:27]
	v_fma_f64 v[28:29], -v[20:21], v[20:21], v[24:25]
	v_fmac_f64_e32 v[22:23], v[22:23], v[26:27]
	v_fmac_f64_e32 v[20:21], v[28:29], v[22:23]
	v_fma_f64 v[26:27], -v[20:21], v[20:21], v[24:25]
	v_mov_b32_e32 v1, 0xffffff80
	v_fmac_f64_e32 v[20:21], v[26:27], v[22:23]
	v_cndmask_b32_e32 v1, 0, v1, vcc
	v_ldexp_f64 v[20:21], v[20:21], v1
	v_mov_b32_e32 v1, 0x260
	v_cmp_class_f64_e32 vcc, v[24:25], v1
	v_cndmask_b32_e32 v21, v21, v25, vcc
	v_cndmask_b32_e32 v20, v20, v24, vcc
	v_div_scale_f64 v[22:23], s[12:13], v[20:21], v[20:21], v[18:19]
	v_rcp_f64_e32 v[24:25], v[22:23]
	v_fma_f64 v[26:27], -v[22:23], v[24:25], 1.0
	v_fmac_f64_e32 v[24:25], v[24:25], v[26:27]
	v_fma_f64 v[26:27], -v[22:23], v[24:25], 1.0
	v_fmac_f64_e32 v[24:25], v[24:25], v[26:27]
	v_div_scale_f64 v[26:27], vcc, v[18:19], v[20:21], v[18:19]
	v_mul_f64 v[28:29], v[26:27], v[24:25]
	v_fma_f64 v[22:23], -v[22:23], v[28:29], v[26:27]
	s_nop 1
	v_div_fmas_f64 v[22:23], v[22:23], v[24:25], v[28:29]
	v_div_fixup_f64 v[18:19], v[22:23], v[20:21], v[18:19]
.LBB7_93:
	s_or_b64 exec, exec, s[10:11]
	s_mov_b32 s10, 0xe6a7fd77
	v_fma_f64 v[16:17], v[16:17], v[16:17], -2.0
	v_mov_b32_e32 v20, 0xc384c2aa
	v_mov_b32_e32 v21, 0x3d27fb0a
	s_mov_b32 s11, 0x3ca3cee1
	v_fmac_f64_e32 v[20:21], s[10:11], v[16:17]
	v_mov_b32_e32 v22, 0xe6a7fd77
	v_mov_b32_e32 v23, 0xbca3cee1
	s_mov_b32 s10, 0x47512144
	v_fmac_f64_e32 v[22:23], v[16:17], v[20:21]
	s_mov_b32 s11, 0x3da6c25c
	v_add_f64 v[22:23], v[22:23], s[10:11]
	s_mov_b32 s10, 0x67e58a13
	v_fma_f64 v[20:21], v[16:17], v[22:23], -v[20:21]
	s_mov_b32 s11, 0x3e205c13
	v_add_f64 v[20:21], v[20:21], s[10:11]
	s_mov_b32 s10, 0xe7f95efc
	v_fma_f64 v[22:23], v[16:17], v[20:21], -v[22:23]
	s_mov_b32 s11, 0x3e9102bc
	v_add_f64 v[22:23], v[22:23], s[10:11]
	s_mov_b32 s10, 0xfe8cfca0
	v_fma_f64 v[20:21], v[16:17], v[22:23], -v[20:21]
	s_mov_b32 s11, 0x3ef7f900
	v_add_f64 v[20:21], v[20:21], s[10:11]
	s_mov_b32 s10, 0x75633d73
	v_fma_f64 v[22:23], v[16:17], v[20:21], -v[22:23]
	s_mov_b32 s11, 0x3f54b82e
	v_add_f64 v[22:23], v[22:23], s[10:11]
	s_mov_b32 s10, 0x554a9085
	v_fma_f64 v[20:21], v[16:17], v[22:23], -v[20:21]
	s_mov_b32 s11, 0x3fa26bf6
	v_add_f64 v[20:21], v[20:21], s[10:11]
	s_mov_b32 s10, 0x81213db9
	v_fma_f64 v[22:23], v[16:17], v[20:21], -v[22:23]
	s_mov_b32 s11, 0x3fd608d8
	v_add_f64 v[22:23], v[22:23], s[10:11]
	s_mov_b32 s10, 0xe9d2f61f
	v_fma_f64 v[16:17], v[16:17], v[22:23], -v[20:21]
	s_mov_b32 s11, 0xbfe12166
	v_add_f64 v[16:17], v[16:17], s[10:11]
	s_mov_b32 s10, 0x55555555
	v_add_f64 v[16:17], v[16:17], -v[20:21]
	v_frexp_mant_f64_e32 v[20:21], v[10:11]
	s_mov_b32 s11, 0x3fe55555
	v_mov_b32_e32 v3, 0x3ff00000
	v_cmp_gt_f64_e32 vcc, s[10:11], v[20:21]
	v_cndmask_b32_e64 v23, v3, 2.0, vcc
	v_mov_b32_e32 v22, 0
	v_mul_f64 v[20:21], v[20:21], v[22:23]
	v_add_f64 v[22:23], v[20:21], 1.0
	v_rcp_f64_e32 v[24:25], v[22:23]
	v_add_f64 v[28:29], v[22:23], -1.0
	v_add_f64 v[26:27], v[20:21], -1.0
	v_add_f64 v[20:21], v[20:21], -v[28:29]
	v_fma_f64 v[28:29], -v[22:23], v[24:25], 1.0
	v_fmac_f64_e32 v[24:25], v[28:29], v[24:25]
	v_fma_f64 v[28:29], -v[22:23], v[24:25], 1.0
	v_fmac_f64_e32 v[24:25], v[28:29], v[24:25]
	v_mul_f64 v[28:29], v[26:27], v[24:25]
	v_mul_f64 v[30:31], v[22:23], v[28:29]
	v_fma_f64 v[22:23], v[28:29], v[22:23], -v[30:31]
	v_fmac_f64_e32 v[22:23], v[28:29], v[20:21]
	v_add_f64 v[20:21], v[30:31], v[22:23]
	v_add_f64 v[32:33], v[26:27], -v[20:21]
	v_add_f64 v[30:31], v[20:21], -v[30:31]
	;; [unrolled: 1-line block ×5, first 2 shown]
	v_add_f64 v[20:21], v[22:23], v[20:21]
	v_add_f64 v[20:21], v[32:33], v[20:21]
	v_mul_f64 v[20:21], v[24:25], v[20:21]
	v_add_f64 v[22:23], v[28:29], v[20:21]
	v_add_f64 v[24:25], v[22:23], -v[28:29]
	s_mov_b32 s10, 0xbf559e2b
	v_add_f64 v[20:21], v[20:21], -v[24:25]
	v_mul_f64 v[24:25], v[22:23], v[22:23]
	v_mov_b32_e32 v26, 0x6b47b09a
	v_mov_b32_e32 v27, 0x3fc38538
	s_mov_b32 s11, 0x3fc3ab76
	v_fmac_f64_e32 v[26:27], s[10:11], v[24:25]
	v_mov_b32_e32 v28, 0xd7f4df2e
	v_mov_b32_e32 v29, 0x3fc7474d
	v_fmac_f64_e32 v[28:29], v[24:25], v[26:27]
	v_mov_b32_e32 v26, 0x16291751
	v_mov_b32_e32 v27, 0x3fcc71c0
	;; [unrolled: 3-line block ×5, first 2 shown]
	v_fmac_f64_e32 v[28:29], v[24:25], v[26:27]
	v_ldexp_f64 v[26:27], v[22:23], 1
	v_mul_f64 v[22:23], v[22:23], v[24:25]
	v_mul_f64 v[22:23], v[22:23], v[28:29]
	v_add_f64 v[24:25], v[26:27], v[22:23]
	v_add_f64 v[26:27], v[24:25], -v[26:27]
	v_ldexp_f64 v[20:21], v[20:21], 1
	v_add_f64 v[22:23], v[22:23], -v[26:27]
	v_add_f64 v[20:21], v[20:21], v[22:23]
	v_frexp_exp_i32_f64_e32 v1, v[10:11]
	v_add_f64 v[22:23], v[24:25], v[20:21]
	v_subbrev_co_u32_e32 v1, vcc, 0, v1, vcc
	v_add_f64 v[24:25], v[22:23], -v[24:25]
	s_mov_b32 s10, 0xfefa39ef
	v_add_f64 v[20:21], v[20:21], -v[24:25]
	v_cvt_f64_i32_e32 v[24:25], v1
	s_mov_b32 s11, 0x3fe62e42
	v_mul_f64 v[26:27], v[24:25], s[10:11]
	v_fma_f64 v[28:29], v[24:25], s[10:11], -v[26:27]
	s_mov_b32 s10, 0x3b39803f
	s_mov_b32 s11, 0x3c7abc9e
	v_fmac_f64_e32 v[28:29], s[10:11], v[24:25]
	v_add_f64 v[24:25], v[26:27], v[28:29]
	v_add_f64 v[26:27], v[24:25], -v[26:27]
	v_add_f64 v[26:27], v[28:29], -v[26:27]
	v_add_f64 v[28:29], v[24:25], v[22:23]
	v_add_f64 v[30:31], v[28:29], -v[24:25]
	v_add_f64 v[32:33], v[28:29], -v[30:31]
	;; [unrolled: 1-line block ×4, first 2 shown]
	v_add_f64 v[22:23], v[22:23], v[24:25]
	v_add_f64 v[24:25], v[26:27], v[20:21]
	v_add_f64 v[30:31], v[24:25], -v[26:27]
	v_add_f64 v[32:33], v[24:25], -v[30:31]
	v_add_f64 v[22:23], v[24:25], v[22:23]
	v_add_f64 v[26:27], v[26:27], -v[32:33]
	v_add_f64 v[20:21], v[20:21], -v[30:31]
	v_add_f64 v[24:25], v[28:29], v[22:23]
	v_add_f64 v[20:21], v[20:21], v[26:27]
	v_add_f64 v[26:27], v[24:25], -v[28:29]
	v_add_f64 v[22:23], v[22:23], -v[26:27]
	s_mov_b32 s10, 0
	v_add_f64 v[20:21], v[20:21], v[22:23]
	s_mov_b32 s11, 0x7ff00000
	v_add_f64 v[20:21], v[24:25], v[20:21]
	v_cmp_eq_f64_e32 vcc, s[10:11], v[10:11]
	v_cndmask_b32_e32 v1, v20, v10, vcc
	v_cndmask_b32_e32 v3, v21, v11, vcc
	v_mov_b32_e32 v5, 0xfff00000
	v_cmp_neq_f64_e32 vcc, 0, v[10:11]
	v_cndmask_b32_e32 v11, v5, v3, vcc
	v_cndmask_b32_e32 v10, 0, v1, vcc
	v_mul_f64 v[10:11], v[10:11], v[18:19]
	v_fma_f64 v[10:11], v[16:17], 0.5, -v[10:11]
                                        ; implicit-def: $vgpr16_vgpr17
.LBB7_94:
	s_andn2_saveexec_b64 s[8:9], s[8:9]
	s_cbranch_execz .LBB7_96
; %bb.95:
	s_mov_b32 s10, 0
	s_mov_b32 s11, 0x40200000
	v_div_scale_f64 v[10:11], s[12:13], v[16:17], v[16:17], s[10:11]
	v_rcp_f64_e32 v[18:19], v[10:11]
	v_mov_b32_e32 v24, 0xfca7ab0c
	v_mov_b32_e32 v25, 0x3e928af3
	;; [unrolled: 1-line block ×3, first 2 shown]
	v_fma_f64 v[20:21], -v[10:11], v[18:19], 1.0
	v_fmac_f64_e32 v[18:19], v[18:19], v[20:21]
	v_fma_f64 v[20:21], -v[10:11], v[18:19], 1.0
	v_fmac_f64_e32 v[18:19], v[18:19], v[20:21]
	v_div_scale_f64 v[20:21], vcc, s[10:11], v[16:17], s[10:11]
	v_mul_f64 v[22:23], v[20:21], v[18:19]
	v_fma_f64 v[10:11], -v[10:11], v[22:23], v[20:21]
	v_mov_b32_e32 v20, 0xcf8c9ee1
	s_nop 0
	v_div_fmas_f64 v[10:11], v[10:11], v[18:19], v[22:23]
	v_div_fixup_f64 v[10:11], v[10:11], v[16:17], s[10:11]
	s_mov_b32 s10, 0xcf8c9ee1
	v_add_f64 v[10:11], v[10:11], -2.0
	v_mov_b32_e32 v18, 0x93812603
	v_mov_b32_e32 v19, 0xbc72fecc
	s_mov_b32 s11, 0x3c5871a5
	v_fmac_f64_e32 v[18:19], s[10:11], v[10:11]
	v_mov_b32_e32 v21, 0xbc5871a5
	s_mov_b32 s10, 0x41a8cdf4
	v_fmac_f64_e32 v[20:21], v[10:11], v[18:19]
	s_mov_b32 s11, 0x3c8e092e
	v_add_f64 v[20:21], v[20:21], s[10:11]
	s_mov_b32 s10, 0x74d77641
	v_fma_f64 v[18:19], v[10:11], v[20:21], -v[18:19]
	s_mov_b32 s11, 0xbca82f94
	v_add_f64 v[18:19], v[18:19], s[10:11]
	s_mov_b32 s10, 0x6b94785b
	v_fma_f64 v[20:21], v[10:11], v[18:19], -v[20:21]
	;; [unrolled: 4-line block ×22, first 2 shown]
	s_mov_b32 s11, 0x400385bd
	v_add_f64 v[10:11], v[10:11], s[10:11]
	s_mov_b32 s10, 0x652b82fe
	s_mov_b32 s11, 0xbff71547
	v_mul_f64 v[18:19], v[16:17], s[10:11]
	s_mov_b32 s10, 0xfefa39ef
	v_rndne_f64_e32 v[18:19], v[18:19]
	s_mov_b32 s11, 0xbfe62e42
	v_fma_f64 v[22:23], v[18:19], s[10:11], -v[16:17]
	s_mov_b32 s10, 0x3b39803f
	s_mov_b32 s11, 0xbc7abc9e
	v_fmac_f64_e32 v[22:23], s[10:11], v[18:19]
	s_mov_b32 s10, 0x6a5dcb37
	s_mov_b32 s11, 0x3e5ade15
	v_fmac_f64_e32 v[24:25], s[10:11], v[22:23]
	v_mov_b32_e32 v27, 0x3ec71dee
	v_fmac_f64_e32 v[26:27], v[22:23], v[24:25]
	v_mov_b32_e32 v24, 0x7c89e6b0
	v_mov_b32_e32 v25, 0x3efa0199
	v_fmac_f64_e32 v[24:25], v[22:23], v[26:27]
	v_mov_b32_e32 v26, 0x14761f6e
	;; [unrolled: 3-line block ×7, first 2 shown]
	v_mov_b32_e32 v25, 0x3fe00000
	v_fmac_f64_e32 v[24:25], v[22:23], v[26:27]
	s_mov_b32 s10, 0
	v_fma_f64 v[24:25], v[22:23], v[24:25], 1.0
	s_mov_b32 s11, 0x4090cc00
	v_fma_f64 v[22:23], v[22:23], v[24:25], 1.0
	v_cvt_i32_f64_e32 v1, v[18:19]
	v_cmp_nlt_f64_e32 vcc, s[10:11], v[16:17]
	s_mov_b32 s10, 0
	v_ldexp_f64 v[18:19], v[22:23], v1
	s_brev_b32 s11, 8
	v_cndmask_b32_e32 v19, 0, v19, vcc
	v_cndmask_b32_e32 v18, 0, v18, vcc
	v_cmp_gt_f64_e32 vcc, s[10:11], v[16:17]
	v_cndmask_b32_e64 v1, 0, 1, vcc
	v_lshlrev_b32_e32 v1, 8, v1
	v_ldexp_f64 v[16:17], v[16:17], v1
	v_rsq_f64_e32 v[22:23], v[16:17]
	v_add_f64 v[10:11], v[10:11], -v[20:21]
	v_mul_f64 v[10:11], v[10:11], 0.5
	v_mul_f64 v[10:11], v[18:19], v[10:11]
	v_mul_f64 v[18:19], v[16:17], v[22:23]
	v_mul_f64 v[20:21], v[22:23], 0.5
	v_fma_f64 v[22:23], -v[20:21], v[18:19], 0.5
	v_fmac_f64_e32 v[18:19], v[18:19], v[22:23]
	v_fma_f64 v[24:25], -v[18:19], v[18:19], v[16:17]
	v_fmac_f64_e32 v[20:21], v[20:21], v[22:23]
	v_fmac_f64_e32 v[18:19], v[24:25], v[20:21]
	v_fma_f64 v[22:23], -v[18:19], v[18:19], v[16:17]
	v_mov_b32_e32 v1, 0xffffff80
	v_fmac_f64_e32 v[18:19], v[22:23], v[20:21]
	v_cndmask_b32_e32 v1, 0, v1, vcc
	v_ldexp_f64 v[18:19], v[18:19], v1
	v_mov_b32_e32 v1, 0x260
	v_cmp_class_f64_e32 vcc, v[16:17], v1
	v_cndmask_b32_e32 v17, v19, v17, vcc
	v_cndmask_b32_e32 v16, v18, v16, vcc
	v_div_scale_f64 v[18:19], s[10:11], v[16:17], v[16:17], v[10:11]
	v_rcp_f64_e32 v[20:21], v[18:19]
	v_fma_f64 v[22:23], -v[18:19], v[20:21], 1.0
	v_fmac_f64_e32 v[20:21], v[20:21], v[22:23]
	v_fma_f64 v[22:23], -v[18:19], v[20:21], 1.0
	v_fmac_f64_e32 v[20:21], v[20:21], v[22:23]
	v_div_scale_f64 v[22:23], vcc, v[10:11], v[16:17], v[10:11]
	v_mul_f64 v[24:25], v[22:23], v[20:21]
	v_fma_f64 v[18:19], -v[18:19], v[24:25], v[22:23]
	s_nop 1
	v_div_fmas_f64 v[18:19], v[18:19], v[20:21], v[24:25]
	v_div_fixup_f64 v[10:11], v[18:19], v[16:17], v[10:11]
.LBB7_96:
	s_or_b64 exec, exec, s[8:9]
.LBB7_97:
	s_or_b64 exec, exec, s[6:7]
.LBB7_98:
	s_or_b64 exec, exec, s[4:5]
	global_load_dwordx2 v[18:19], v14, s[2:3]
	v_mov_b32_e32 v14, 0
	v_mov_b32_e32 v15, 0x7ff00000
	v_pk_mov_b32 v[16:17], v[14:15], v[14:15] op_sel:[0,1]
	s_waitcnt vmcnt(0)
	v_cmp_neq_f64_e32 vcc, 0, v[18:19]
	s_and_saveexec_b64 s[4:5], vcc
	s_cbranch_execz .LBB7_110
; %bb.99:
	v_mov_b32_e32 v16, 0
	v_cmp_ngt_f64_e32 vcc, 0, v[18:19]
	v_mov_b32_e32 v17, 0x7ff80000
	s_and_saveexec_b64 s[6:7], vcc
	s_cbranch_execz .LBB7_109
; %bb.100:
	v_cmp_ge_f64_e32 vcc, 2.0, v[18:19]
                                        ; implicit-def: $vgpr16_vgpr17
	s_and_saveexec_b64 s[8:9], vcc
	s_xor_b64 s[8:9], exec, s[8:9]
	s_cbranch_execz .LBB7_106
; %bb.101:
	s_mov_b32 s10, 0
	s_mov_b32 s11, 0x40200000
	v_mul_f64 v[16:17], v[18:19], 0.5
	v_cmp_ge_f64_e32 vcc, s[10:11], v[18:19]
                                        ; implicit-def: $vgpr20_vgpr21
	s_and_saveexec_b64 s[10:11], vcc
	s_xor_b64 s[10:11], exec, s[10:11]
	s_cbranch_execz .LBB7_103
; %bb.102:
	s_mov_b32 s12, 0x2134d0ef
	v_add_f64 v[20:21], v[16:17], -2.0
	v_mov_b32_e32 v22, 0x977da589
	v_mov_b32_e32 v23, 0x3c833362
	s_mov_b32 s13, 0xbc545cb7
	v_fmac_f64_e32 v[22:23], s[12:13], v[20:21]
	v_mov_b32_e32 v24, 0x2134d0ef
	v_mov_b32_e32 v25, 0x3c545cb7
	s_mov_b32 s12, 0x721ebbb4
	v_fmac_f64_e32 v[24:25], v[20:21], v[22:23]
	s_mov_b32 s13, 0xbcb184eb
	v_add_f64 v[24:25], v[24:25], s[12:13]
	s_mov_b32 s12, 0x93f65eba
	v_fma_f64 v[22:23], v[20:21], v[24:25], -v[22:23]
	s_mov_b32 s13, 0x3cdee6d8
	v_add_f64 v[22:23], v[22:23], s[12:13]
	s_mov_b32 s12, 0xc297fbeb
	v_fma_f64 v[24:25], v[20:21], v[22:23], -v[24:25]
	;; [unrolled: 4-line block ×27, first 2 shown]
	s_mov_b32 s13, 0x3fe5a84e
	v_add_f64 v[20:21], v[20:21], s[12:13]
	s_mov_b32 s12, 0x652b82fe
	s_mov_b32 s13, 0x3ff71547
	v_mul_f64 v[24:25], v[18:19], s[12:13]
	s_mov_b32 s12, 0xfefa39ef
	v_rndne_f64_e32 v[24:25], v[24:25]
	s_mov_b32 s13, 0xbfe62e42
	v_fma_f64 v[26:27], s[12:13], v[24:25], v[18:19]
	s_mov_b32 s12, 0x3b39803f
	s_mov_b32 s13, 0xbc7abc9e
	v_fmac_f64_e32 v[26:27], s[12:13], v[24:25]
	s_mov_b32 s12, 0x6a5dcb37
	v_mov_b32_e32 v28, 0xfca7ab0c
	v_mov_b32_e32 v29, 0x3e928af3
	s_mov_b32 s13, 0x3e5ade15
	v_fmac_f64_e32 v[28:29], s[12:13], v[26:27]
	v_mov_b32_e32 v30, 0x623fde64
	v_mov_b32_e32 v31, 0x3ec71dee
	v_fmac_f64_e32 v[30:31], v[26:27], v[28:29]
	v_mov_b32_e32 v28, 0x7c89e6b0
	v_mov_b32_e32 v29, 0x3efa0199
	;; [unrolled: 3-line block ×8, first 2 shown]
	v_fmac_f64_e32 v[28:29], v[26:27], v[30:31]
	v_fma_f64 v[28:29], v[26:27], v[28:29], 1.0
	s_mov_b32 s12, 0
	v_fma_f64 v[26:27], v[26:27], v[28:29], 1.0
	v_cvt_i32_f64_e32 v1, v[24:25]
	s_mov_b32 s13, 0x40900000
	v_ldexp_f64 v[24:25], v[26:27], v1
	v_mov_b32_e32 v1, 0x7ff00000
	v_cmp_nlt_f64_e32 vcc, s[12:13], v[18:19]
	v_add_f64 v[20:21], v[20:21], -v[22:23]
	v_cndmask_b32_e32 v25, v1, v25, vcc
	v_cndmask_b32_e32 v24, 0, v24, vcc
	v_mul_f64 v[20:21], v[20:21], 0.5
	v_mul_f64 v[20:21], v[24:25], v[20:21]
.LBB7_103:
	s_andn2_saveexec_b64 s[10:11], s[10:11]
	s_cbranch_execz .LBB7_105
; %bb.104:
	s_mov_b32 s12, 0
	s_mov_b32 s13, 0x40400000
	v_div_scale_f64 v[20:21], s[14:15], v[18:19], v[18:19], s[12:13]
	v_rcp_f64_e32 v[22:23], v[20:21]
	v_mov_b32_e32 v28, 0xfca7ab0c
	v_mov_b32_e32 v29, 0x3e928af3
	;; [unrolled: 1-line block ×3, first 2 shown]
	v_fma_f64 v[24:25], -v[20:21], v[22:23], 1.0
	v_fmac_f64_e32 v[22:23], v[22:23], v[24:25]
	v_fma_f64 v[24:25], -v[20:21], v[22:23], 1.0
	v_fmac_f64_e32 v[22:23], v[22:23], v[24:25]
	v_div_scale_f64 v[24:25], vcc, s[12:13], v[18:19], s[12:13]
	v_mul_f64 v[26:27], v[24:25], v[22:23]
	v_fma_f64 v[20:21], -v[20:21], v[26:27], v[24:25]
	v_mov_b32_e32 v24, 0x54ca8b19
	s_nop 0
	v_div_fmas_f64 v[20:21], v[20:21], v[22:23], v[26:27]
	v_div_fixup_f64 v[20:21], v[20:21], v[18:19], s[12:13]
	s_mov_b32 s12, 0x54ca8b19
	v_add_f64 v[20:21], v[20:21], -2.0
	v_mov_b32_e32 v22, 0x66119130
	v_mov_b32_e32 v23, 0xbc5646da
	s_mov_b32 s13, 0xbc60adb7
	v_fmac_f64_e32 v[22:23], s[12:13], v[20:21]
	v_mov_b32_e32 v25, 0x3c60adb7
	s_mov_b32 s12, 0x12d98421
	v_fmac_f64_e32 v[24:25], v[20:21], v[22:23]
	s_mov_b32 s13, 0x3c89be18
	v_add_f64 v[24:25], v[24:25], s[12:13]
	s_mov_b32 s12, 0x76041cd
	v_fma_f64 v[22:23], v[20:21], v[24:25], -v[22:23]
	s_mov_b32 s13, 0x3c83f3dd
	v_add_f64 v[22:23], v[22:23], s[12:13]
	s_mov_b32 s12, 0xabd21fe4
	v_fma_f64 v[24:25], v[20:21], v[22:23], -v[24:25]
	;; [unrolled: 4-line block ×22, first 2 shown]
	s_mov_b32 s13, 0x3fe9be62
	v_add_f64 v[20:21], v[20:21], s[12:13]
	s_mov_b32 s12, 0x652b82fe
	s_mov_b32 s13, 0x3ff71547
	v_mul_f64 v[22:23], v[18:19], s[12:13]
	s_mov_b32 s12, 0xfefa39ef
	v_rndne_f64_e32 v[22:23], v[22:23]
	s_mov_b32 s13, 0xbfe62e42
	v_fma_f64 v[26:27], s[12:13], v[22:23], v[18:19]
	s_mov_b32 s12, 0x3b39803f
	s_mov_b32 s13, 0xbc7abc9e
	v_fmac_f64_e32 v[26:27], s[12:13], v[22:23]
	s_mov_b32 s12, 0x6a5dcb37
	s_mov_b32 s13, 0x3e5ade15
	v_fmac_f64_e32 v[28:29], s[12:13], v[26:27]
	v_mov_b32_e32 v31, 0x3ec71dee
	v_fmac_f64_e32 v[30:31], v[26:27], v[28:29]
	v_mov_b32_e32 v28, 0x7c89e6b0
	v_mov_b32_e32 v29, 0x3efa0199
	v_fmac_f64_e32 v[28:29], v[26:27], v[30:31]
	v_mov_b32_e32 v30, 0x14761f6e
	;; [unrolled: 3-line block ×7, first 2 shown]
	v_mov_b32_e32 v29, 0x3fe00000
	v_fmac_f64_e32 v[28:29], v[26:27], v[30:31]
	s_mov_b32 s12, 0
	v_fma_f64 v[28:29], v[26:27], v[28:29], 1.0
	s_mov_b32 s13, 0x40900000
	v_fma_f64 v[26:27], v[26:27], v[28:29], 1.0
	v_cvt_i32_f64_e32 v1, v[22:23]
	v_cmp_nlt_f64_e32 vcc, s[12:13], v[18:19]
	s_mov_b32 s12, 0
	v_ldexp_f64 v[22:23], v[26:27], v1
	v_mov_b32_e32 v1, 0x7ff00000
	s_brev_b32 s13, 8
	v_cndmask_b32_e32 v23, v1, v23, vcc
	v_cndmask_b32_e32 v22, 0, v22, vcc
	v_cmp_gt_f64_e32 vcc, s[12:13], v[18:19]
	v_cndmask_b32_e64 v1, 0, 1, vcc
	v_lshlrev_b32_e32 v1, 8, v1
	v_ldexp_f64 v[26:27], v[18:19], v1
	v_rsq_f64_e32 v[28:29], v[26:27]
	v_add_f64 v[20:21], v[20:21], -v[24:25]
	v_mul_f64 v[20:21], v[20:21], 0.5
	v_mul_f64 v[20:21], v[22:23], v[20:21]
	v_mul_f64 v[22:23], v[26:27], v[28:29]
	v_mul_f64 v[24:25], v[28:29], 0.5
	v_fma_f64 v[28:29], -v[24:25], v[22:23], 0.5
	v_fmac_f64_e32 v[22:23], v[22:23], v[28:29]
	v_fma_f64 v[30:31], -v[22:23], v[22:23], v[26:27]
	v_fmac_f64_e32 v[24:25], v[24:25], v[28:29]
	v_fmac_f64_e32 v[22:23], v[30:31], v[24:25]
	v_fma_f64 v[28:29], -v[22:23], v[22:23], v[26:27]
	v_mov_b32_e32 v1, 0xffffff80
	v_fmac_f64_e32 v[22:23], v[28:29], v[24:25]
	v_cndmask_b32_e32 v1, 0, v1, vcc
	v_ldexp_f64 v[22:23], v[22:23], v1
	v_mov_b32_e32 v1, 0x260
	v_cmp_class_f64_e32 vcc, v[26:27], v1
	v_cndmask_b32_e32 v23, v23, v27, vcc
	v_cndmask_b32_e32 v22, v22, v26, vcc
	v_div_scale_f64 v[24:25], s[12:13], v[22:23], v[22:23], v[20:21]
	v_rcp_f64_e32 v[26:27], v[24:25]
	v_fma_f64 v[28:29], -v[24:25], v[26:27], 1.0
	v_fmac_f64_e32 v[26:27], v[26:27], v[28:29]
	v_fma_f64 v[28:29], -v[24:25], v[26:27], 1.0
	v_fmac_f64_e32 v[26:27], v[26:27], v[28:29]
	v_div_scale_f64 v[28:29], vcc, v[20:21], v[22:23], v[20:21]
	v_mul_f64 v[30:31], v[28:29], v[26:27]
	v_fma_f64 v[24:25], -v[24:25], v[30:31], v[28:29]
	s_nop 1
	v_div_fmas_f64 v[24:25], v[24:25], v[26:27], v[30:31]
	v_div_fixup_f64 v[20:21], v[24:25], v[22:23], v[20:21]
.LBB7_105:
	s_or_b64 exec, exec, s[10:11]
	s_mov_b32 s10, 0xe6a7fd77
	v_fma_f64 v[18:19], v[18:19], v[18:19], -2.0
	v_mov_b32_e32 v22, 0xc384c2aa
	v_mov_b32_e32 v23, 0x3d27fb0a
	s_mov_b32 s11, 0x3ca3cee1
	v_fmac_f64_e32 v[22:23], s[10:11], v[18:19]
	v_mov_b32_e32 v24, 0xe6a7fd77
	v_mov_b32_e32 v25, 0xbca3cee1
	s_mov_b32 s10, 0x47512144
	v_fmac_f64_e32 v[24:25], v[18:19], v[22:23]
	s_mov_b32 s11, 0x3da6c25c
	v_add_f64 v[24:25], v[24:25], s[10:11]
	s_mov_b32 s10, 0x67e58a13
	v_fma_f64 v[22:23], v[18:19], v[24:25], -v[22:23]
	s_mov_b32 s11, 0x3e205c13
	v_add_f64 v[22:23], v[22:23], s[10:11]
	s_mov_b32 s10, 0xe7f95efc
	v_fma_f64 v[24:25], v[18:19], v[22:23], -v[24:25]
	;; [unrolled: 4-line block ×7, first 2 shown]
	s_mov_b32 s11, 0xbfe12166
	v_add_f64 v[18:19], v[18:19], s[10:11]
	s_mov_b32 s10, 0x55555555
	v_add_f64 v[18:19], v[18:19], -v[22:23]
	v_frexp_mant_f64_e32 v[22:23], v[16:17]
	s_mov_b32 s11, 0x3fe55555
	v_mov_b32_e32 v3, 0x3ff00000
	v_cmp_gt_f64_e32 vcc, s[10:11], v[22:23]
	v_cndmask_b32_e64 v25, v3, 2.0, vcc
	v_mov_b32_e32 v24, 0
	v_mul_f64 v[22:23], v[22:23], v[24:25]
	v_add_f64 v[24:25], v[22:23], 1.0
	v_rcp_f64_e32 v[26:27], v[24:25]
	v_add_f64 v[30:31], v[24:25], -1.0
	v_add_f64 v[28:29], v[22:23], -1.0
	v_add_f64 v[22:23], v[22:23], -v[30:31]
	v_fma_f64 v[30:31], -v[24:25], v[26:27], 1.0
	v_fmac_f64_e32 v[26:27], v[30:31], v[26:27]
	v_fma_f64 v[30:31], -v[24:25], v[26:27], 1.0
	v_fmac_f64_e32 v[26:27], v[30:31], v[26:27]
	v_mul_f64 v[30:31], v[28:29], v[26:27]
	v_mul_f64 v[32:33], v[24:25], v[30:31]
	v_fma_f64 v[24:25], v[30:31], v[24:25], -v[32:33]
	v_fmac_f64_e32 v[24:25], v[30:31], v[22:23]
	v_add_f64 v[22:23], v[32:33], v[24:25]
	v_add_f64 v[34:35], v[28:29], -v[22:23]
	v_add_f64 v[32:33], v[22:23], -v[32:33]
	;; [unrolled: 1-line block ×5, first 2 shown]
	v_add_f64 v[22:23], v[24:25], v[22:23]
	v_add_f64 v[22:23], v[34:35], v[22:23]
	v_mul_f64 v[22:23], v[26:27], v[22:23]
	v_add_f64 v[24:25], v[30:31], v[22:23]
	v_add_f64 v[26:27], v[24:25], -v[30:31]
	s_mov_b32 s10, 0xbf559e2b
	v_add_f64 v[22:23], v[22:23], -v[26:27]
	v_mul_f64 v[26:27], v[24:25], v[24:25]
	v_mov_b32_e32 v28, 0x6b47b09a
	v_mov_b32_e32 v29, 0x3fc38538
	s_mov_b32 s11, 0x3fc3ab76
	v_fmac_f64_e32 v[28:29], s[10:11], v[26:27]
	v_mov_b32_e32 v30, 0xd7f4df2e
	v_mov_b32_e32 v31, 0x3fc7474d
	v_fmac_f64_e32 v[30:31], v[26:27], v[28:29]
	v_mov_b32_e32 v28, 0x16291751
	v_mov_b32_e32 v29, 0x3fcc71c0
	;; [unrolled: 3-line block ×5, first 2 shown]
	v_fmac_f64_e32 v[30:31], v[26:27], v[28:29]
	v_ldexp_f64 v[28:29], v[24:25], 1
	v_mul_f64 v[24:25], v[24:25], v[26:27]
	v_mul_f64 v[24:25], v[24:25], v[30:31]
	v_add_f64 v[26:27], v[28:29], v[24:25]
	v_add_f64 v[28:29], v[26:27], -v[28:29]
	v_ldexp_f64 v[22:23], v[22:23], 1
	v_add_f64 v[24:25], v[24:25], -v[28:29]
	v_add_f64 v[22:23], v[22:23], v[24:25]
	v_frexp_exp_i32_f64_e32 v1, v[16:17]
	v_add_f64 v[24:25], v[26:27], v[22:23]
	v_subbrev_co_u32_e32 v1, vcc, 0, v1, vcc
	v_add_f64 v[26:27], v[24:25], -v[26:27]
	s_mov_b32 s10, 0xfefa39ef
	v_add_f64 v[22:23], v[22:23], -v[26:27]
	v_cvt_f64_i32_e32 v[26:27], v1
	s_mov_b32 s11, 0x3fe62e42
	v_mul_f64 v[28:29], v[26:27], s[10:11]
	v_fma_f64 v[30:31], v[26:27], s[10:11], -v[28:29]
	s_mov_b32 s10, 0x3b39803f
	s_mov_b32 s11, 0x3c7abc9e
	v_fmac_f64_e32 v[30:31], s[10:11], v[26:27]
	v_add_f64 v[26:27], v[28:29], v[30:31]
	v_add_f64 v[28:29], v[26:27], -v[28:29]
	v_add_f64 v[28:29], v[30:31], -v[28:29]
	v_add_f64 v[30:31], v[26:27], v[24:25]
	v_add_f64 v[32:33], v[30:31], -v[26:27]
	v_add_f64 v[34:35], v[30:31], -v[32:33]
	;; [unrolled: 1-line block ×4, first 2 shown]
	v_add_f64 v[24:25], v[24:25], v[26:27]
	v_add_f64 v[26:27], v[28:29], v[22:23]
	v_add_f64 v[32:33], v[26:27], -v[28:29]
	v_add_f64 v[34:35], v[26:27], -v[32:33]
	v_add_f64 v[24:25], v[26:27], v[24:25]
	v_add_f64 v[28:29], v[28:29], -v[34:35]
	v_add_f64 v[22:23], v[22:23], -v[32:33]
	v_add_f64 v[26:27], v[30:31], v[24:25]
	v_add_f64 v[22:23], v[22:23], v[28:29]
	v_add_f64 v[28:29], v[26:27], -v[30:31]
	v_add_f64 v[24:25], v[24:25], -v[28:29]
	s_mov_b32 s10, 0
	v_add_f64 v[22:23], v[22:23], v[24:25]
	s_mov_b32 s11, 0x7ff00000
	v_add_f64 v[22:23], v[26:27], v[22:23]
	v_cmp_eq_f64_e32 vcc, s[10:11], v[16:17]
	v_cndmask_b32_e32 v1, v22, v16, vcc
	v_cndmask_b32_e32 v3, v23, v17, vcc
	v_mov_b32_e32 v5, 0xfff00000
	v_cmp_neq_f64_e32 vcc, 0, v[16:17]
	v_cndmask_b32_e32 v17, v5, v3, vcc
	v_cndmask_b32_e32 v16, 0, v1, vcc
	v_mul_f64 v[16:17], v[16:17], v[20:21]
	v_fma_f64 v[16:17], v[18:19], 0.5, -v[16:17]
                                        ; implicit-def: $vgpr18_vgpr19
.LBB7_106:
	s_andn2_saveexec_b64 s[8:9], s[8:9]
	s_cbranch_execz .LBB7_108
; %bb.107:
	s_mov_b32 s10, 0
	s_mov_b32 s11, 0x40200000
	v_div_scale_f64 v[16:17], s[12:13], v[18:19], v[18:19], s[10:11]
	v_rcp_f64_e32 v[20:21], v[16:17]
	v_mov_b32_e32 v26, 0xfca7ab0c
	v_mov_b32_e32 v27, 0x3e928af3
	;; [unrolled: 1-line block ×3, first 2 shown]
	v_fma_f64 v[22:23], -v[16:17], v[20:21], 1.0
	v_fmac_f64_e32 v[20:21], v[20:21], v[22:23]
	v_fma_f64 v[22:23], -v[16:17], v[20:21], 1.0
	v_fmac_f64_e32 v[20:21], v[20:21], v[22:23]
	v_div_scale_f64 v[22:23], vcc, s[10:11], v[18:19], s[10:11]
	v_mul_f64 v[24:25], v[22:23], v[20:21]
	v_fma_f64 v[16:17], -v[16:17], v[24:25], v[22:23]
	v_mov_b32_e32 v22, 0xcf8c9ee1
	s_nop 0
	v_div_fmas_f64 v[16:17], v[16:17], v[20:21], v[24:25]
	v_div_fixup_f64 v[16:17], v[16:17], v[18:19], s[10:11]
	s_mov_b32 s10, 0xcf8c9ee1
	v_add_f64 v[16:17], v[16:17], -2.0
	v_mov_b32_e32 v20, 0x93812603
	v_mov_b32_e32 v21, 0xbc72fecc
	s_mov_b32 s11, 0x3c5871a5
	v_fmac_f64_e32 v[20:21], s[10:11], v[16:17]
	v_mov_b32_e32 v23, 0xbc5871a5
	s_mov_b32 s10, 0x41a8cdf4
	v_fmac_f64_e32 v[22:23], v[16:17], v[20:21]
	s_mov_b32 s11, 0x3c8e092e
	v_add_f64 v[22:23], v[22:23], s[10:11]
	s_mov_b32 s10, 0x74d77641
	v_fma_f64 v[20:21], v[16:17], v[22:23], -v[20:21]
	s_mov_b32 s11, 0xbca82f94
	v_add_f64 v[20:21], v[20:21], s[10:11]
	s_mov_b32 s10, 0x6b94785b
	v_fma_f64 v[22:23], v[16:17], v[20:21], -v[22:23]
	;; [unrolled: 4-line block ×22, first 2 shown]
	s_mov_b32 s11, 0x400385bd
	v_add_f64 v[16:17], v[16:17], s[10:11]
	s_mov_b32 s10, 0x652b82fe
	s_mov_b32 s11, 0xbff71547
	v_mul_f64 v[20:21], v[18:19], s[10:11]
	s_mov_b32 s10, 0xfefa39ef
	v_rndne_f64_e32 v[20:21], v[20:21]
	s_mov_b32 s11, 0xbfe62e42
	v_fma_f64 v[24:25], v[20:21], s[10:11], -v[18:19]
	s_mov_b32 s10, 0x3b39803f
	s_mov_b32 s11, 0xbc7abc9e
	v_fmac_f64_e32 v[24:25], s[10:11], v[20:21]
	s_mov_b32 s10, 0x6a5dcb37
	s_mov_b32 s11, 0x3e5ade15
	v_fmac_f64_e32 v[26:27], s[10:11], v[24:25]
	v_mov_b32_e32 v29, 0x3ec71dee
	v_fmac_f64_e32 v[28:29], v[24:25], v[26:27]
	v_mov_b32_e32 v26, 0x7c89e6b0
	v_mov_b32_e32 v27, 0x3efa0199
	v_fmac_f64_e32 v[26:27], v[24:25], v[28:29]
	v_mov_b32_e32 v28, 0x14761f6e
	;; [unrolled: 3-line block ×7, first 2 shown]
	v_mov_b32_e32 v27, 0x3fe00000
	v_fmac_f64_e32 v[26:27], v[24:25], v[28:29]
	s_mov_b32 s10, 0
	v_fma_f64 v[26:27], v[24:25], v[26:27], 1.0
	s_mov_b32 s11, 0x4090cc00
	v_fma_f64 v[24:25], v[24:25], v[26:27], 1.0
	v_cvt_i32_f64_e32 v1, v[20:21]
	v_cmp_nlt_f64_e32 vcc, s[10:11], v[18:19]
	s_mov_b32 s10, 0
	v_ldexp_f64 v[20:21], v[24:25], v1
	s_brev_b32 s11, 8
	v_cndmask_b32_e32 v21, 0, v21, vcc
	v_cndmask_b32_e32 v20, 0, v20, vcc
	v_cmp_gt_f64_e32 vcc, s[10:11], v[18:19]
	v_cndmask_b32_e64 v1, 0, 1, vcc
	v_lshlrev_b32_e32 v1, 8, v1
	v_ldexp_f64 v[18:19], v[18:19], v1
	v_rsq_f64_e32 v[24:25], v[18:19]
	v_add_f64 v[16:17], v[16:17], -v[22:23]
	v_mul_f64 v[16:17], v[16:17], 0.5
	v_mul_f64 v[16:17], v[20:21], v[16:17]
	v_mul_f64 v[20:21], v[18:19], v[24:25]
	v_mul_f64 v[22:23], v[24:25], 0.5
	v_fma_f64 v[24:25], -v[22:23], v[20:21], 0.5
	v_fmac_f64_e32 v[20:21], v[20:21], v[24:25]
	v_fma_f64 v[26:27], -v[20:21], v[20:21], v[18:19]
	v_fmac_f64_e32 v[22:23], v[22:23], v[24:25]
	v_fmac_f64_e32 v[20:21], v[26:27], v[22:23]
	v_fma_f64 v[24:25], -v[20:21], v[20:21], v[18:19]
	v_mov_b32_e32 v1, 0xffffff80
	v_fmac_f64_e32 v[20:21], v[24:25], v[22:23]
	v_cndmask_b32_e32 v1, 0, v1, vcc
	v_ldexp_f64 v[20:21], v[20:21], v1
	v_mov_b32_e32 v1, 0x260
	v_cmp_class_f64_e32 vcc, v[18:19], v1
	v_cndmask_b32_e32 v19, v21, v19, vcc
	v_cndmask_b32_e32 v18, v20, v18, vcc
	v_div_scale_f64 v[20:21], s[10:11], v[18:19], v[18:19], v[16:17]
	v_rcp_f64_e32 v[22:23], v[20:21]
	v_fma_f64 v[24:25], -v[20:21], v[22:23], 1.0
	v_fmac_f64_e32 v[22:23], v[22:23], v[24:25]
	v_fma_f64 v[24:25], -v[20:21], v[22:23], 1.0
	v_fmac_f64_e32 v[22:23], v[22:23], v[24:25]
	v_div_scale_f64 v[24:25], vcc, v[16:17], v[18:19], v[16:17]
	v_mul_f64 v[26:27], v[24:25], v[22:23]
	v_fma_f64 v[20:21], -v[20:21], v[26:27], v[24:25]
	s_nop 1
	v_div_fmas_f64 v[20:21], v[20:21], v[22:23], v[26:27]
	v_div_fixup_f64 v[16:17], v[20:21], v[18:19], v[16:17]
.LBB7_108:
	s_or_b64 exec, exec, s[8:9]
.LBB7_109:
	s_or_b64 exec, exec, s[6:7]
.LBB7_110:
	s_or_b64 exec, exec, s[4:5]
	global_load_dwordx2 v[8:9], v8, s[2:3]
	s_waitcnt vmcnt(0)
	v_cmp_neq_f64_e32 vcc, 0, v[8:9]
	s_and_saveexec_b64 s[2:3], vcc
	s_cbranch_execz .LBB7_122
; %bb.111:
	v_mov_b32_e32 v14, 0
	v_cmp_ngt_f64_e32 vcc, 0, v[8:9]
	v_mov_b32_e32 v15, 0x7ff80000
	s_and_saveexec_b64 s[4:5], vcc
	s_cbranch_execz .LBB7_121
; %bb.112:
	v_cmp_ge_f64_e32 vcc, 2.0, v[8:9]
                                        ; implicit-def: $vgpr14_vgpr15
	s_and_saveexec_b64 s[6:7], vcc
	s_xor_b64 s[6:7], exec, s[6:7]
	s_cbranch_execz .LBB7_118
; %bb.113:
	s_mov_b32 s8, 0
	s_mov_b32 s9, 0x40200000
	v_mul_f64 v[14:15], v[8:9], 0.5
	v_cmp_ge_f64_e32 vcc, s[8:9], v[8:9]
                                        ; implicit-def: $vgpr18_vgpr19
	s_and_saveexec_b64 s[8:9], vcc
	s_xor_b64 s[8:9], exec, s[8:9]
	s_cbranch_execz .LBB7_115
; %bb.114:
	s_mov_b32 s10, 0x2134d0ef
	v_add_f64 v[18:19], v[14:15], -2.0
	v_mov_b32_e32 v20, 0x977da589
	v_mov_b32_e32 v21, 0x3c833362
	s_mov_b32 s11, 0xbc545cb7
	v_fmac_f64_e32 v[20:21], s[10:11], v[18:19]
	v_mov_b32_e32 v22, 0x2134d0ef
	v_mov_b32_e32 v23, 0x3c545cb7
	s_mov_b32 s10, 0x721ebbb4
	v_fmac_f64_e32 v[22:23], v[18:19], v[20:21]
	s_mov_b32 s11, 0xbcb184eb
	v_add_f64 v[22:23], v[22:23], s[10:11]
	s_mov_b32 s10, 0x93f65eba
	v_fma_f64 v[20:21], v[18:19], v[22:23], -v[20:21]
	s_mov_b32 s11, 0x3cdee6d8
	v_add_f64 v[20:21], v[20:21], s[10:11]
	s_mov_b32 s10, 0xc297fbeb
	v_fma_f64 v[22:23], v[18:19], v[20:21], -v[22:23]
	;; [unrolled: 4-line block ×27, first 2 shown]
	s_mov_b32 s11, 0x3fe5a84e
	v_add_f64 v[18:19], v[18:19], s[10:11]
	s_mov_b32 s10, 0x652b82fe
	s_mov_b32 s11, 0x3ff71547
	v_mul_f64 v[22:23], v[8:9], s[10:11]
	s_mov_b32 s10, 0xfefa39ef
	v_rndne_f64_e32 v[22:23], v[22:23]
	s_mov_b32 s11, 0xbfe62e42
	v_fma_f64 v[24:25], s[10:11], v[22:23], v[8:9]
	s_mov_b32 s10, 0x3b39803f
	s_mov_b32 s11, 0xbc7abc9e
	v_fmac_f64_e32 v[24:25], s[10:11], v[22:23]
	s_mov_b32 s10, 0x6a5dcb37
	v_mov_b32_e32 v26, 0xfca7ab0c
	v_mov_b32_e32 v27, 0x3e928af3
	s_mov_b32 s11, 0x3e5ade15
	v_fmac_f64_e32 v[26:27], s[10:11], v[24:25]
	v_mov_b32_e32 v28, 0x623fde64
	v_mov_b32_e32 v29, 0x3ec71dee
	v_fmac_f64_e32 v[28:29], v[24:25], v[26:27]
	v_mov_b32_e32 v26, 0x7c89e6b0
	v_mov_b32_e32 v27, 0x3efa0199
	;; [unrolled: 3-line block ×8, first 2 shown]
	v_fmac_f64_e32 v[26:27], v[24:25], v[28:29]
	v_fma_f64 v[26:27], v[24:25], v[26:27], 1.0
	s_mov_b32 s10, 0
	v_fma_f64 v[24:25], v[24:25], v[26:27], 1.0
	v_cvt_i32_f64_e32 v1, v[22:23]
	s_mov_b32 s11, 0x40900000
	v_ldexp_f64 v[22:23], v[24:25], v1
	v_mov_b32_e32 v1, 0x7ff00000
	v_cmp_nlt_f64_e32 vcc, s[10:11], v[8:9]
	v_add_f64 v[18:19], v[18:19], -v[20:21]
	v_cndmask_b32_e32 v23, v1, v23, vcc
	v_cndmask_b32_e32 v22, 0, v22, vcc
	v_mul_f64 v[18:19], v[18:19], 0.5
	v_mul_f64 v[18:19], v[22:23], v[18:19]
.LBB7_115:
	s_andn2_saveexec_b64 s[8:9], s[8:9]
	s_cbranch_execz .LBB7_117
; %bb.116:
	s_mov_b32 s10, 0
	s_mov_b32 s11, 0x40400000
	v_div_scale_f64 v[18:19], s[12:13], v[8:9], v[8:9], s[10:11]
	v_rcp_f64_e32 v[20:21], v[18:19]
	v_mov_b32_e32 v26, 0xfca7ab0c
	v_mov_b32_e32 v27, 0x3e928af3
	v_mov_b32_e32 v28, 0x623fde64
	v_fma_f64 v[22:23], -v[18:19], v[20:21], 1.0
	v_fmac_f64_e32 v[20:21], v[20:21], v[22:23]
	v_fma_f64 v[22:23], -v[18:19], v[20:21], 1.0
	v_fmac_f64_e32 v[20:21], v[20:21], v[22:23]
	v_div_scale_f64 v[22:23], vcc, s[10:11], v[8:9], s[10:11]
	v_mul_f64 v[24:25], v[22:23], v[20:21]
	v_fma_f64 v[18:19], -v[18:19], v[24:25], v[22:23]
	v_mov_b32_e32 v22, 0x54ca8b19
	s_nop 0
	v_div_fmas_f64 v[18:19], v[18:19], v[20:21], v[24:25]
	v_div_fixup_f64 v[18:19], v[18:19], v[8:9], s[10:11]
	s_mov_b32 s10, 0x54ca8b19
	v_add_f64 v[18:19], v[18:19], -2.0
	v_mov_b32_e32 v20, 0x66119130
	v_mov_b32_e32 v21, 0xbc5646da
	s_mov_b32 s11, 0xbc60adb7
	v_fmac_f64_e32 v[20:21], s[10:11], v[18:19]
	v_mov_b32_e32 v23, 0x3c60adb7
	s_mov_b32 s10, 0x12d98421
	v_fmac_f64_e32 v[22:23], v[18:19], v[20:21]
	s_mov_b32 s11, 0x3c89be18
	v_add_f64 v[22:23], v[22:23], s[10:11]
	s_mov_b32 s10, 0x76041cd
	v_fma_f64 v[20:21], v[18:19], v[22:23], -v[20:21]
	s_mov_b32 s11, 0x3c83f3dd
	v_add_f64 v[20:21], v[20:21], s[10:11]
	s_mov_b32 s10, 0xabd21fe4
	v_fma_f64 v[22:23], v[18:19], v[20:21], -v[22:23]
	;; [unrolled: 4-line block ×22, first 2 shown]
	s_mov_b32 s11, 0x3fe9be62
	v_add_f64 v[18:19], v[18:19], s[10:11]
	s_mov_b32 s10, 0x652b82fe
	s_mov_b32 s11, 0x3ff71547
	v_mul_f64 v[20:21], v[8:9], s[10:11]
	s_mov_b32 s10, 0xfefa39ef
	v_rndne_f64_e32 v[20:21], v[20:21]
	s_mov_b32 s11, 0xbfe62e42
	v_fma_f64 v[24:25], s[10:11], v[20:21], v[8:9]
	s_mov_b32 s10, 0x3b39803f
	s_mov_b32 s11, 0xbc7abc9e
	v_fmac_f64_e32 v[24:25], s[10:11], v[20:21]
	s_mov_b32 s10, 0x6a5dcb37
	s_mov_b32 s11, 0x3e5ade15
	v_fmac_f64_e32 v[26:27], s[10:11], v[24:25]
	v_mov_b32_e32 v29, 0x3ec71dee
	v_fmac_f64_e32 v[28:29], v[24:25], v[26:27]
	v_mov_b32_e32 v26, 0x7c89e6b0
	v_mov_b32_e32 v27, 0x3efa0199
	v_fmac_f64_e32 v[26:27], v[24:25], v[28:29]
	v_mov_b32_e32 v28, 0x14761f6e
	;; [unrolled: 3-line block ×7, first 2 shown]
	v_mov_b32_e32 v27, 0x3fe00000
	v_fmac_f64_e32 v[26:27], v[24:25], v[28:29]
	s_mov_b32 s10, 0
	v_fma_f64 v[26:27], v[24:25], v[26:27], 1.0
	s_mov_b32 s11, 0x40900000
	v_fma_f64 v[24:25], v[24:25], v[26:27], 1.0
	v_cvt_i32_f64_e32 v1, v[20:21]
	v_cmp_nlt_f64_e32 vcc, s[10:11], v[8:9]
	s_mov_b32 s10, 0
	v_ldexp_f64 v[20:21], v[24:25], v1
	v_mov_b32_e32 v1, 0x7ff00000
	s_brev_b32 s11, 8
	v_cndmask_b32_e32 v21, v1, v21, vcc
	v_cndmask_b32_e32 v20, 0, v20, vcc
	v_cmp_gt_f64_e32 vcc, s[10:11], v[8:9]
	v_cndmask_b32_e64 v1, 0, 1, vcc
	v_lshlrev_b32_e32 v1, 8, v1
	v_ldexp_f64 v[24:25], v[8:9], v1
	v_rsq_f64_e32 v[26:27], v[24:25]
	v_add_f64 v[18:19], v[18:19], -v[22:23]
	v_mul_f64 v[18:19], v[18:19], 0.5
	v_mul_f64 v[18:19], v[20:21], v[18:19]
	v_mul_f64 v[20:21], v[24:25], v[26:27]
	v_mul_f64 v[22:23], v[26:27], 0.5
	v_fma_f64 v[26:27], -v[22:23], v[20:21], 0.5
	v_fmac_f64_e32 v[20:21], v[20:21], v[26:27]
	v_fma_f64 v[28:29], -v[20:21], v[20:21], v[24:25]
	v_fmac_f64_e32 v[22:23], v[22:23], v[26:27]
	v_fmac_f64_e32 v[20:21], v[28:29], v[22:23]
	v_fma_f64 v[26:27], -v[20:21], v[20:21], v[24:25]
	v_mov_b32_e32 v1, 0xffffff80
	v_fmac_f64_e32 v[20:21], v[26:27], v[22:23]
	v_cndmask_b32_e32 v1, 0, v1, vcc
	v_ldexp_f64 v[20:21], v[20:21], v1
	v_mov_b32_e32 v1, 0x260
	v_cmp_class_f64_e32 vcc, v[24:25], v1
	v_cndmask_b32_e32 v21, v21, v25, vcc
	v_cndmask_b32_e32 v20, v20, v24, vcc
	v_div_scale_f64 v[22:23], s[10:11], v[20:21], v[20:21], v[18:19]
	v_rcp_f64_e32 v[24:25], v[22:23]
	v_fma_f64 v[26:27], -v[22:23], v[24:25], 1.0
	v_fmac_f64_e32 v[24:25], v[24:25], v[26:27]
	v_fma_f64 v[26:27], -v[22:23], v[24:25], 1.0
	v_fmac_f64_e32 v[24:25], v[24:25], v[26:27]
	v_div_scale_f64 v[26:27], vcc, v[18:19], v[20:21], v[18:19]
	v_mul_f64 v[28:29], v[26:27], v[24:25]
	v_fma_f64 v[22:23], -v[22:23], v[28:29], v[26:27]
	s_nop 1
	v_div_fmas_f64 v[22:23], v[22:23], v[24:25], v[28:29]
	v_div_fixup_f64 v[18:19], v[22:23], v[20:21], v[18:19]
.LBB7_117:
	s_or_b64 exec, exec, s[8:9]
	s_mov_b32 s8, 0xe6a7fd77
	v_fma_f64 v[8:9], v[8:9], v[8:9], -2.0
	v_mov_b32_e32 v20, 0xc384c2aa
	v_mov_b32_e32 v21, 0x3d27fb0a
	s_mov_b32 s9, 0x3ca3cee1
	v_fmac_f64_e32 v[20:21], s[8:9], v[8:9]
	v_mov_b32_e32 v22, 0xe6a7fd77
	v_mov_b32_e32 v23, 0xbca3cee1
	s_mov_b32 s8, 0x47512144
	v_fmac_f64_e32 v[22:23], v[8:9], v[20:21]
	s_mov_b32 s9, 0x3da6c25c
	v_add_f64 v[22:23], v[22:23], s[8:9]
	s_mov_b32 s8, 0x67e58a13
	v_fma_f64 v[20:21], v[8:9], v[22:23], -v[20:21]
	s_mov_b32 s9, 0x3e205c13
	v_add_f64 v[20:21], v[20:21], s[8:9]
	s_mov_b32 s8, 0xe7f95efc
	v_fma_f64 v[22:23], v[8:9], v[20:21], -v[22:23]
	;; [unrolled: 4-line block ×7, first 2 shown]
	s_mov_b32 s9, 0xbfe12166
	v_add_f64 v[8:9], v[8:9], s[8:9]
	s_mov_b32 s8, 0x55555555
	v_add_f64 v[8:9], v[8:9], -v[20:21]
	v_frexp_mant_f64_e32 v[20:21], v[14:15]
	s_mov_b32 s9, 0x3fe55555
	v_mov_b32_e32 v3, 0x3ff00000
	v_cmp_gt_f64_e32 vcc, s[8:9], v[20:21]
	v_cndmask_b32_e64 v23, v3, 2.0, vcc
	v_mov_b32_e32 v22, 0
	v_mul_f64 v[20:21], v[20:21], v[22:23]
	v_add_f64 v[22:23], v[20:21], 1.0
	v_rcp_f64_e32 v[24:25], v[22:23]
	v_add_f64 v[28:29], v[22:23], -1.0
	v_add_f64 v[26:27], v[20:21], -1.0
	v_add_f64 v[20:21], v[20:21], -v[28:29]
	v_fma_f64 v[28:29], -v[22:23], v[24:25], 1.0
	v_fmac_f64_e32 v[24:25], v[28:29], v[24:25]
	v_fma_f64 v[28:29], -v[22:23], v[24:25], 1.0
	v_fmac_f64_e32 v[24:25], v[28:29], v[24:25]
	v_mul_f64 v[28:29], v[26:27], v[24:25]
	v_mul_f64 v[30:31], v[22:23], v[28:29]
	v_fma_f64 v[22:23], v[28:29], v[22:23], -v[30:31]
	v_fmac_f64_e32 v[22:23], v[28:29], v[20:21]
	v_add_f64 v[20:21], v[30:31], v[22:23]
	v_add_f64 v[32:33], v[26:27], -v[20:21]
	v_add_f64 v[30:31], v[20:21], -v[30:31]
	;; [unrolled: 1-line block ×5, first 2 shown]
	v_add_f64 v[20:21], v[22:23], v[20:21]
	v_add_f64 v[20:21], v[32:33], v[20:21]
	v_mul_f64 v[20:21], v[24:25], v[20:21]
	v_add_f64 v[22:23], v[28:29], v[20:21]
	v_add_f64 v[24:25], v[22:23], -v[28:29]
	s_mov_b32 s8, 0xbf559e2b
	v_add_f64 v[20:21], v[20:21], -v[24:25]
	v_mul_f64 v[24:25], v[22:23], v[22:23]
	v_mov_b32_e32 v26, 0x6b47b09a
	v_mov_b32_e32 v27, 0x3fc38538
	s_mov_b32 s9, 0x3fc3ab76
	v_fmac_f64_e32 v[26:27], s[8:9], v[24:25]
	v_mov_b32_e32 v28, 0xd7f4df2e
	v_mov_b32_e32 v29, 0x3fc7474d
	v_fmac_f64_e32 v[28:29], v[24:25], v[26:27]
	v_mov_b32_e32 v26, 0x16291751
	v_mov_b32_e32 v27, 0x3fcc71c0
	;; [unrolled: 3-line block ×5, first 2 shown]
	v_fmac_f64_e32 v[28:29], v[24:25], v[26:27]
	v_ldexp_f64 v[26:27], v[22:23], 1
	v_mul_f64 v[22:23], v[22:23], v[24:25]
	v_mul_f64 v[22:23], v[22:23], v[28:29]
	v_add_f64 v[24:25], v[26:27], v[22:23]
	v_add_f64 v[26:27], v[24:25], -v[26:27]
	v_ldexp_f64 v[20:21], v[20:21], 1
	v_add_f64 v[22:23], v[22:23], -v[26:27]
	v_add_f64 v[20:21], v[20:21], v[22:23]
	v_frexp_exp_i32_f64_e32 v1, v[14:15]
	v_add_f64 v[22:23], v[24:25], v[20:21]
	v_subbrev_co_u32_e32 v1, vcc, 0, v1, vcc
	v_add_f64 v[24:25], v[22:23], -v[24:25]
	s_mov_b32 s8, 0xfefa39ef
	v_add_f64 v[20:21], v[20:21], -v[24:25]
	v_cvt_f64_i32_e32 v[24:25], v1
	s_mov_b32 s9, 0x3fe62e42
	v_mul_f64 v[26:27], v[24:25], s[8:9]
	v_fma_f64 v[28:29], v[24:25], s[8:9], -v[26:27]
	s_mov_b32 s8, 0x3b39803f
	s_mov_b32 s9, 0x3c7abc9e
	v_fmac_f64_e32 v[28:29], s[8:9], v[24:25]
	v_add_f64 v[24:25], v[26:27], v[28:29]
	v_add_f64 v[26:27], v[24:25], -v[26:27]
	v_add_f64 v[26:27], v[28:29], -v[26:27]
	v_add_f64 v[28:29], v[24:25], v[22:23]
	v_add_f64 v[30:31], v[28:29], -v[24:25]
	v_add_f64 v[32:33], v[28:29], -v[30:31]
	;; [unrolled: 1-line block ×4, first 2 shown]
	v_add_f64 v[22:23], v[22:23], v[24:25]
	v_add_f64 v[24:25], v[26:27], v[20:21]
	v_add_f64 v[30:31], v[24:25], -v[26:27]
	v_add_f64 v[32:33], v[24:25], -v[30:31]
	v_add_f64 v[22:23], v[24:25], v[22:23]
	v_add_f64 v[26:27], v[26:27], -v[32:33]
	v_add_f64 v[20:21], v[20:21], -v[30:31]
	v_add_f64 v[24:25], v[28:29], v[22:23]
	v_add_f64 v[20:21], v[20:21], v[26:27]
	v_add_f64 v[26:27], v[24:25], -v[28:29]
	v_add_f64 v[22:23], v[22:23], -v[26:27]
	s_mov_b32 s8, 0
	v_add_f64 v[20:21], v[20:21], v[22:23]
	s_mov_b32 s9, 0x7ff00000
	v_add_f64 v[20:21], v[24:25], v[20:21]
	v_cmp_eq_f64_e32 vcc, s[8:9], v[14:15]
	v_cndmask_b32_e32 v1, v20, v14, vcc
	v_cndmask_b32_e32 v3, v21, v15, vcc
	v_mov_b32_e32 v5, 0xfff00000
	v_cmp_neq_f64_e32 vcc, 0, v[14:15]
	v_cndmask_b32_e32 v15, v5, v3, vcc
	v_cndmask_b32_e32 v14, 0, v1, vcc
	v_mul_f64 v[14:15], v[14:15], v[18:19]
	v_fma_f64 v[14:15], v[8:9], 0.5, -v[14:15]
                                        ; implicit-def: $vgpr8_vgpr9
.LBB7_118:
	s_andn2_saveexec_b64 s[6:7], s[6:7]
	s_cbranch_execz .LBB7_120
; %bb.119:
	s_mov_b32 s8, 0
	s_mov_b32 s9, 0x40200000
	v_div_scale_f64 v[14:15], s[10:11], v[8:9], v[8:9], s[8:9]
	v_rcp_f64_e32 v[18:19], v[14:15]
	v_mov_b32_e32 v24, 0xfca7ab0c
	v_mov_b32_e32 v25, 0x3e928af3
	;; [unrolled: 1-line block ×3, first 2 shown]
	v_fma_f64 v[20:21], -v[14:15], v[18:19], 1.0
	v_fmac_f64_e32 v[18:19], v[18:19], v[20:21]
	v_fma_f64 v[20:21], -v[14:15], v[18:19], 1.0
	v_fmac_f64_e32 v[18:19], v[18:19], v[20:21]
	v_div_scale_f64 v[20:21], vcc, s[8:9], v[8:9], s[8:9]
	v_mul_f64 v[22:23], v[20:21], v[18:19]
	v_fma_f64 v[14:15], -v[14:15], v[22:23], v[20:21]
	v_mov_b32_e32 v20, 0xcf8c9ee1
	s_nop 0
	v_div_fmas_f64 v[14:15], v[14:15], v[18:19], v[22:23]
	v_div_fixup_f64 v[14:15], v[14:15], v[8:9], s[8:9]
	s_mov_b32 s8, 0xcf8c9ee1
	v_add_f64 v[14:15], v[14:15], -2.0
	v_mov_b32_e32 v18, 0x93812603
	v_mov_b32_e32 v19, 0xbc72fecc
	s_mov_b32 s9, 0x3c5871a5
	v_fmac_f64_e32 v[18:19], s[8:9], v[14:15]
	v_mov_b32_e32 v21, 0xbc5871a5
	s_mov_b32 s8, 0x41a8cdf4
	v_fmac_f64_e32 v[20:21], v[14:15], v[18:19]
	s_mov_b32 s9, 0x3c8e092e
	v_add_f64 v[20:21], v[20:21], s[8:9]
	s_mov_b32 s8, 0x74d77641
	v_fma_f64 v[18:19], v[14:15], v[20:21], -v[18:19]
	s_mov_b32 s9, 0xbca82f94
	v_add_f64 v[18:19], v[18:19], s[8:9]
	s_mov_b32 s8, 0x6b94785b
	v_fma_f64 v[20:21], v[14:15], v[18:19], -v[20:21]
	s_mov_b32 s9, 0x3cc3dbf9
	v_add_f64 v[20:21], v[20:21], s[8:9]
	s_mov_b32 s8, 0xecfadd36
	v_fma_f64 v[18:19], v[14:15], v[20:21], -v[18:19]
	s_mov_b32 s9, 0xbce0a690
	v_add_f64 v[18:19], v[18:19], s[8:9]
	s_mov_b32 s8, 0x4a7ddc98
	v_fma_f64 v[20:21], v[14:15], v[18:19], -v[20:21]
	s_mov_b32 s9, 0x3cfc8d9c
	v_add_f64 v[20:21], v[20:21], s[8:9]
	s_mov_b32 s8, 0xbb056fc2
	v_fma_f64 v[18:19], v[14:15], v[20:21], -v[18:19]
	s_mov_b32 s9, 0xbd19145e
	v_add_f64 v[18:19], v[18:19], s[8:9]
	s_mov_b32 s8, 0xcd94cfe2
	v_fma_f64 v[20:21], v[14:15], v[18:19], -v[20:21]
	s_mov_b32 s9, 0x3d369c4e
	v_add_f64 v[20:21], v[20:21], s[8:9]
	s_mov_b32 s8, 0x21a470d1
	v_fma_f64 v[18:19], v[14:15], v[20:21], -v[18:19]
	s_mov_b32 s9, 0xbd54f877
	v_add_f64 v[18:19], v[18:19], s[8:9]
	s_mov_b32 s8, 0x2fccfc25
	v_fma_f64 v[20:21], v[14:15], v[18:19], -v[20:21]
	s_mov_b32 s9, 0x3d740fa3
	v_add_f64 v[20:21], v[20:21], s[8:9]
	s_mov_b32 s8, 0x3f005143
	v_fma_f64 v[18:19], v[14:15], v[20:21], -v[18:19]
	s_mov_b32 s9, 0xbd93dafc
	v_add_f64 v[18:19], v[18:19], s[8:9]
	s_mov_b32 s8, 0x475fbcc7
	v_fma_f64 v[20:21], v[14:15], v[18:19], -v[20:21]
	s_mov_b32 s9, 0x3db46808
	v_add_f64 v[20:21], v[20:21], s[8:9]
	s_mov_b32 s8, 0xd2e7c935
	v_fma_f64 v[18:19], v[14:15], v[20:21], -v[18:19]
	s_mov_b32 s9, 0xbdd5df95
	v_add_f64 v[18:19], v[18:19], s[8:9]
	s_mov_b32 s8, 0x819ff608
	v_fma_f64 v[20:21], v[14:15], v[18:19], -v[20:21]
	s_mov_b32 s9, 0x3df8956c
	v_add_f64 v[20:21], v[20:21], s[8:9]
	s_mov_b32 s8, 0xf22bf5db
	v_fma_f64 v[18:19], v[14:15], v[20:21], -v[18:19]
	s_mov_b32 s9, 0xbe1d29d5
	v_add_f64 v[18:19], v[18:19], s[8:9]
	s_mov_b32 s8, 0x33f428e
	v_fma_f64 v[20:21], v[14:15], v[18:19], -v[20:21]
	s_mov_b32 s9, 0x3e4269a0
	v_add_f64 v[20:21], v[20:21], s[8:9]
	s_mov_b32 s8, 0x1b54f2af
	v_fma_f64 v[18:19], v[14:15], v[20:21], -v[18:19]
	s_mov_b32 s9, 0xbe690554
	v_add_f64 v[18:19], v[18:19], s[8:9]
	s_mov_b32 s8, 0x81e3e46f
	v_fma_f64 v[20:21], v[14:15], v[18:19], -v[20:21]
	s_mov_b32 s9, 0x3e929159
	v_add_f64 v[20:21], v[20:21], s[8:9]
	s_mov_b32 s8, 0x7f18d3a9
	v_fma_f64 v[18:19], v[14:15], v[20:21], -v[18:19]
	s_mov_b32 s9, 0xbebebb54
	v_add_f64 v[18:19], v[18:19], s[8:9]
	s_mov_b32 s8, 0xcc7470a9
	v_fma_f64 v[20:21], v[14:15], v[18:19], -v[20:21]
	s_mov_b32 s9, 0x3eed413f
	v_add_f64 v[20:21], v[20:21], s[8:9]
	s_mov_b32 s8, 0xe7889f42
	v_fma_f64 v[18:19], v[14:15], v[20:21], -v[18:19]
	s_mov_b32 s9, 0xbf20d797
	v_add_f64 v[18:19], v[18:19], s[8:9]
	s_mov_b32 s8, 0xfca79342
	v_fma_f64 v[20:21], v[14:15], v[18:19], -v[20:21]
	s_mov_b32 s9, 0x3f59b891
	v_add_f64 v[20:21], v[20:21], s[8:9]
	s_mov_b32 s8, 0x2d4ff71e
	v_fma_f64 v[18:19], v[14:15], v[20:21], -v[18:19]
	s_mov_b32 s9, 0xbfa019f7
	v_add_f64 v[18:19], v[18:19], s[8:9]
	s_mov_b32 s8, 0x9f4e6907
	v_fma_f64 v[14:15], v[14:15], v[18:19], -v[20:21]
	s_mov_b32 s9, 0x400385bd
	v_add_f64 v[14:15], v[14:15], s[8:9]
	s_mov_b32 s8, 0x652b82fe
	s_mov_b32 s9, 0xbff71547
	v_mul_f64 v[18:19], v[8:9], s[8:9]
	s_mov_b32 s8, 0xfefa39ef
	v_rndne_f64_e32 v[18:19], v[18:19]
	s_mov_b32 s9, 0xbfe62e42
	v_fma_f64 v[22:23], v[18:19], s[8:9], -v[8:9]
	s_mov_b32 s8, 0x3b39803f
	s_mov_b32 s9, 0xbc7abc9e
	v_fmac_f64_e32 v[22:23], s[8:9], v[18:19]
	s_mov_b32 s8, 0x6a5dcb37
	s_mov_b32 s9, 0x3e5ade15
	v_fmac_f64_e32 v[24:25], s[8:9], v[22:23]
	v_mov_b32_e32 v27, 0x3ec71dee
	v_fmac_f64_e32 v[26:27], v[22:23], v[24:25]
	v_mov_b32_e32 v24, 0x7c89e6b0
	v_mov_b32_e32 v25, 0x3efa0199
	v_fmac_f64_e32 v[24:25], v[22:23], v[26:27]
	v_mov_b32_e32 v26, 0x14761f6e
	;; [unrolled: 3-line block ×7, first 2 shown]
	v_mov_b32_e32 v25, 0x3fe00000
	v_fmac_f64_e32 v[24:25], v[22:23], v[26:27]
	s_mov_b32 s8, 0
	v_fma_f64 v[24:25], v[22:23], v[24:25], 1.0
	s_mov_b32 s9, 0x4090cc00
	v_fma_f64 v[22:23], v[22:23], v[24:25], 1.0
	v_cvt_i32_f64_e32 v1, v[18:19]
	v_cmp_nlt_f64_e32 vcc, s[8:9], v[8:9]
	s_mov_b32 s8, 0
	v_ldexp_f64 v[18:19], v[22:23], v1
	s_brev_b32 s9, 8
	v_cndmask_b32_e32 v19, 0, v19, vcc
	v_cndmask_b32_e32 v18, 0, v18, vcc
	v_cmp_gt_f64_e32 vcc, s[8:9], v[8:9]
	v_cndmask_b32_e64 v1, 0, 1, vcc
	v_lshlrev_b32_e32 v1, 8, v1
	v_ldexp_f64 v[8:9], v[8:9], v1
	v_rsq_f64_e32 v[22:23], v[8:9]
	v_add_f64 v[14:15], v[14:15], -v[20:21]
	v_mul_f64 v[14:15], v[14:15], 0.5
	v_mul_f64 v[14:15], v[18:19], v[14:15]
	v_mul_f64 v[18:19], v[8:9], v[22:23]
	v_mul_f64 v[20:21], v[22:23], 0.5
	v_fma_f64 v[22:23], -v[20:21], v[18:19], 0.5
	v_fmac_f64_e32 v[18:19], v[18:19], v[22:23]
	v_fma_f64 v[24:25], -v[18:19], v[18:19], v[8:9]
	v_fmac_f64_e32 v[20:21], v[20:21], v[22:23]
	v_fmac_f64_e32 v[18:19], v[24:25], v[20:21]
	v_fma_f64 v[22:23], -v[18:19], v[18:19], v[8:9]
	v_mov_b32_e32 v1, 0xffffff80
	v_fmac_f64_e32 v[18:19], v[22:23], v[20:21]
	v_cndmask_b32_e32 v1, 0, v1, vcc
	v_ldexp_f64 v[18:19], v[18:19], v1
	v_mov_b32_e32 v1, 0x260
	v_cmp_class_f64_e32 vcc, v[8:9], v1
	v_cndmask_b32_e32 v9, v19, v9, vcc
	v_cndmask_b32_e32 v8, v18, v8, vcc
	v_div_scale_f64 v[18:19], s[8:9], v[8:9], v[8:9], v[14:15]
	v_rcp_f64_e32 v[20:21], v[18:19]
	v_fma_f64 v[22:23], -v[18:19], v[20:21], 1.0
	v_fmac_f64_e32 v[20:21], v[20:21], v[22:23]
	v_fma_f64 v[22:23], -v[18:19], v[20:21], 1.0
	v_fmac_f64_e32 v[20:21], v[20:21], v[22:23]
	v_div_scale_f64 v[22:23], vcc, v[14:15], v[8:9], v[14:15]
	v_mul_f64 v[24:25], v[22:23], v[20:21]
	v_fma_f64 v[18:19], -v[18:19], v[24:25], v[22:23]
	s_nop 1
	v_div_fmas_f64 v[18:19], v[18:19], v[20:21], v[24:25]
	v_div_fixup_f64 v[14:15], v[18:19], v[8:9], v[14:15]
.LBB7_120:
	s_or_b64 exec, exec, s[6:7]
.LBB7_121:
	s_or_b64 exec, exec, s[4:5]
.LBB7_122:
	s_or_b64 exec, exec, s[2:3]
	global_store_dwordx2 v0, v[12:13], s[0:1]
	global_store_dwordx2 v2, v[10:11], s[0:1]
	;; [unrolled: 1-line block ×4, first 2 shown]
	s_endpgm
.LBB7_123:
	s_mov_b32 s51, s50
	v_pk_mov_b32 v[0:1], s[50:51], s[50:51] op_sel:[0,1]
                                        ; implicit-def: $vgpr2
	v_mov_b32_e32 v3, v8
.LBB7_124:
	s_and_b32 s12, s59, 3
	s_cmp_eq_u32 s12, 0
	s_cbranch_scc1 .LBB7_128
; %bb.125:
	s_lshl_b32 s8, s50, 3
	s_add_u32 s8, s8, s4
	s_addc_u32 s9, s5, 0
	s_add_u32 s8, s8, 0xc4
	s_addc_u32 s9, s9, 0
	s_mul_i32 s10, s50, 12
	s_add_u32 s10, s4, s10
	s_addc_u32 s11, s5, 0
.LBB7_126:                              ; =>This Inner Loop Header: Depth=1
	s_load_dwordx2 s[14:15], s[10:11], 0x4
	s_load_dword s13, s[10:11], 0xc
	s_load_dwordx2 s[16:17], s[8:9], 0x0
	v_mov_b32_e32 v2, v1
	s_add_u32 s10, s10, 12
	s_waitcnt lgkmcnt(0)
	v_mul_hi_u32 v1, s15, v3
	v_add_u32_e32 v1, v3, v1
	v_lshrrev_b32_e32 v1, s13, v1
	s_addc_u32 s11, s11, 0
	v_mul_lo_u32 v4, v1, s14
	s_add_u32 s8, s8, 8
	v_sub_u32_e32 v6, v3, v4
	v_mov_b32_e32 v3, v1
	s_addc_u32 s9, s9, 0
	s_add_i32 s12, s12, -1
	v_mad_u64_u32 v[4:5], s[14:15], v6, s17, v[2:3]
	v_mad_u64_u32 v[0:1], s[14:15], v6, s16, v[0:1]
	s_cmp_lg_u32 s12, 0
	v_mov_b32_e32 v1, v4
	s_cbranch_scc1 .LBB7_126
; %bb.127:
	v_mov_b32_e32 v2, v1
.LBB7_128:
	s_cbranch_execnz .LBB7_131
.LBB7_129:
	s_waitcnt lgkmcnt(0)
	v_mul_hi_u32 v0, s29, v8
	v_add_u32_e32 v0, v8, v0
	v_lshrrev_b32_e32 v1, s30, v0
	v_mul_lo_u32 v0, v1, s28
	v_sub_u32_e32 v0, v8, v0
	v_mul_lo_u32 v2, v0, s25
	s_andn2_b64 vcc, exec, s[42:43]
	v_mul_lo_u32 v0, v0, s24
	s_cbranch_vccnz .LBB7_131
; %bb.130:
	v_mul_hi_u32 v3, s40, v1
	v_add_u32_e32 v3, v1, v3
	v_lshrrev_b32_e32 v3, s41, v3
	v_mul_lo_u32 v3, v3, s31
	v_sub_u32_e32 v3, v1, v3
	v_mad_u64_u32 v[0:1], s[8:9], v3, s26, v[0:1]
	v_mad_u64_u32 v[2:3], s[8:9], v3, s27, v[2:3]
.LBB7_131:
	s_waitcnt lgkmcnt(0)
	global_load_dwordx2 v[2:3], v2, s[2:3]
	v_mov_b32_e32 v4, 0
	v_mov_b32_e32 v5, 0x7ff00000
	s_waitcnt vmcnt(0)
	v_cmp_neq_f64_e32 vcc, 0, v[2:3]
	s_and_saveexec_b64 s[8:9], vcc
	s_cbranch_execz .LBB7_143
; %bb.132:
	v_mov_b32_e32 v4, 0
	v_cmp_ngt_f64_e32 vcc, 0, v[2:3]
	v_mov_b32_e32 v5, 0x7ff80000
	s_and_saveexec_b64 s[10:11], vcc
	s_cbranch_execz .LBB7_142
; %bb.133:
	v_cmp_ge_f64_e32 vcc, 2.0, v[2:3]
                                        ; implicit-def: $vgpr4_vgpr5
	s_and_saveexec_b64 s[12:13], vcc
	s_xor_b64 s[12:13], exec, s[12:13]
	s_cbranch_execz .LBB7_139
; %bb.134:
	s_mov_b32 s14, 0
	s_mov_b32 s15, 0x40200000
	v_mul_f64 v[4:5], v[2:3], 0.5
	v_cmp_ge_f64_e32 vcc, s[14:15], v[2:3]
                                        ; implicit-def: $vgpr6_vgpr7
	s_and_saveexec_b64 s[14:15], vcc
	s_xor_b64 s[14:15], exec, s[14:15]
	s_cbranch_execz .LBB7_136
; %bb.135:
	s_mov_b32 s16, 0x2134d0ef
	v_add_f64 v[6:7], v[4:5], -2.0
	v_mov_b32_e32 v10, 0x977da589
	v_mov_b32_e32 v11, 0x3c833362
	s_mov_b32 s17, 0xbc545cb7
	v_fmac_f64_e32 v[10:11], s[16:17], v[6:7]
	v_mov_b32_e32 v12, 0x2134d0ef
	v_mov_b32_e32 v13, 0x3c545cb7
	s_mov_b32 s16, 0x721ebbb4
	v_fmac_f64_e32 v[12:13], v[6:7], v[10:11]
	s_mov_b32 s17, 0xbcb184eb
	v_add_f64 v[12:13], v[12:13], s[16:17]
	s_mov_b32 s16, 0x93f65eba
	v_fma_f64 v[10:11], v[6:7], v[12:13], -v[10:11]
	s_mov_b32 s17, 0x3cdee6d8
	v_add_f64 v[10:11], v[10:11], s[16:17]
	s_mov_b32 s16, 0xc297fbeb
	v_fma_f64 v[12:13], v[6:7], v[10:11], -v[12:13]
	;; [unrolled: 4-line block ×27, first 2 shown]
	s_mov_b32 s17, 0x3fe5a84e
	v_add_f64 v[6:7], v[6:7], s[16:17]
	s_mov_b32 s16, 0x652b82fe
	s_mov_b32 s17, 0x3ff71547
	v_mul_f64 v[12:13], v[2:3], s[16:17]
	s_mov_b32 s16, 0xfefa39ef
	v_rndne_f64_e32 v[12:13], v[12:13]
	s_mov_b32 s17, 0xbfe62e42
	v_fma_f64 v[14:15], s[16:17], v[12:13], v[2:3]
	s_mov_b32 s16, 0x3b39803f
	s_mov_b32 s17, 0xbc7abc9e
	v_fmac_f64_e32 v[14:15], s[16:17], v[12:13]
	s_mov_b32 s16, 0x6a5dcb37
	v_mov_b32_e32 v16, 0xfca7ab0c
	v_mov_b32_e32 v17, 0x3e928af3
	s_mov_b32 s17, 0x3e5ade15
	v_fmac_f64_e32 v[16:17], s[16:17], v[14:15]
	v_mov_b32_e32 v18, 0x623fde64
	v_mov_b32_e32 v19, 0x3ec71dee
	v_fmac_f64_e32 v[18:19], v[14:15], v[16:17]
	v_mov_b32_e32 v16, 0x7c89e6b0
	v_mov_b32_e32 v17, 0x3efa0199
	;; [unrolled: 3-line block ×8, first 2 shown]
	v_fmac_f64_e32 v[16:17], v[14:15], v[18:19]
	v_fma_f64 v[16:17], v[14:15], v[16:17], 1.0
	s_mov_b32 s16, 0
	v_fma_f64 v[14:15], v[14:15], v[16:17], 1.0
	v_cvt_i32_f64_e32 v1, v[12:13]
	s_mov_b32 s17, 0x40900000
	v_ldexp_f64 v[12:13], v[14:15], v1
	v_mov_b32_e32 v1, 0x7ff00000
	v_cmp_nlt_f64_e32 vcc, s[16:17], v[2:3]
	v_add_f64 v[6:7], v[6:7], -v[10:11]
	v_cndmask_b32_e32 v13, v1, v13, vcc
	v_cndmask_b32_e32 v12, 0, v12, vcc
	v_mul_f64 v[6:7], v[6:7], 0.5
	v_mul_f64 v[6:7], v[12:13], v[6:7]
.LBB7_136:
	s_andn2_saveexec_b64 s[14:15], s[14:15]
	s_cbranch_execz .LBB7_138
; %bb.137:
	s_mov_b32 s16, 0
	s_mov_b32 s17, 0x40400000
	v_div_scale_f64 v[6:7], s[18:19], v[2:3], v[2:3], s[16:17]
	v_rcp_f64_e32 v[10:11], v[6:7]
	v_mov_b32_e32 v16, 0xfca7ab0c
	v_mov_b32_e32 v17, 0x3e928af3
	;; [unrolled: 1-line block ×3, first 2 shown]
	v_fma_f64 v[12:13], -v[6:7], v[10:11], 1.0
	v_fmac_f64_e32 v[10:11], v[10:11], v[12:13]
	v_fma_f64 v[12:13], -v[6:7], v[10:11], 1.0
	v_fmac_f64_e32 v[10:11], v[10:11], v[12:13]
	v_div_scale_f64 v[12:13], vcc, s[16:17], v[2:3], s[16:17]
	v_mul_f64 v[14:15], v[12:13], v[10:11]
	v_fma_f64 v[6:7], -v[6:7], v[14:15], v[12:13]
	v_mov_b32_e32 v12, 0x54ca8b19
	s_nop 0
	v_div_fmas_f64 v[6:7], v[6:7], v[10:11], v[14:15]
	v_div_fixup_f64 v[6:7], v[6:7], v[2:3], s[16:17]
	s_mov_b32 s16, 0x54ca8b19
	v_add_f64 v[6:7], v[6:7], -2.0
	v_mov_b32_e32 v10, 0x66119130
	v_mov_b32_e32 v11, 0xbc5646da
	s_mov_b32 s17, 0xbc60adb7
	v_fmac_f64_e32 v[10:11], s[16:17], v[6:7]
	v_mov_b32_e32 v13, 0x3c60adb7
	s_mov_b32 s16, 0x12d98421
	v_fmac_f64_e32 v[12:13], v[6:7], v[10:11]
	s_mov_b32 s17, 0x3c89be18
	v_add_f64 v[12:13], v[12:13], s[16:17]
	s_mov_b32 s16, 0x76041cd
	v_fma_f64 v[10:11], v[6:7], v[12:13], -v[10:11]
	s_mov_b32 s17, 0x3c83f3dd
	v_add_f64 v[10:11], v[10:11], s[16:17]
	s_mov_b32 s16, 0xabd21fe4
	v_fma_f64 v[12:13], v[6:7], v[10:11], -v[12:13]
	;; [unrolled: 4-line block ×22, first 2 shown]
	s_mov_b32 s17, 0x3fe9be62
	v_add_f64 v[6:7], v[6:7], s[16:17]
	s_mov_b32 s16, 0x652b82fe
	s_mov_b32 s17, 0x3ff71547
	v_mul_f64 v[10:11], v[2:3], s[16:17]
	s_mov_b32 s16, 0xfefa39ef
	v_rndne_f64_e32 v[10:11], v[10:11]
	s_mov_b32 s17, 0xbfe62e42
	v_fma_f64 v[14:15], s[16:17], v[10:11], v[2:3]
	s_mov_b32 s16, 0x3b39803f
	s_mov_b32 s17, 0xbc7abc9e
	v_fmac_f64_e32 v[14:15], s[16:17], v[10:11]
	s_mov_b32 s16, 0x6a5dcb37
	s_mov_b32 s17, 0x3e5ade15
	v_fmac_f64_e32 v[16:17], s[16:17], v[14:15]
	v_mov_b32_e32 v19, 0x3ec71dee
	v_fmac_f64_e32 v[18:19], v[14:15], v[16:17]
	v_mov_b32_e32 v16, 0x7c89e6b0
	v_mov_b32_e32 v17, 0x3efa0199
	v_fmac_f64_e32 v[16:17], v[14:15], v[18:19]
	v_mov_b32_e32 v18, 0x14761f6e
	;; [unrolled: 3-line block ×7, first 2 shown]
	v_mov_b32_e32 v17, 0x3fe00000
	v_fmac_f64_e32 v[16:17], v[14:15], v[18:19]
	s_mov_b32 s16, 0
	v_fma_f64 v[16:17], v[14:15], v[16:17], 1.0
	s_mov_b32 s17, 0x40900000
	v_fma_f64 v[14:15], v[14:15], v[16:17], 1.0
	v_cvt_i32_f64_e32 v1, v[10:11]
	v_cmp_nlt_f64_e32 vcc, s[16:17], v[2:3]
	s_mov_b32 s16, 0
	v_ldexp_f64 v[10:11], v[14:15], v1
	v_mov_b32_e32 v1, 0x7ff00000
	s_brev_b32 s17, 8
	v_cndmask_b32_e32 v11, v1, v11, vcc
	v_cndmask_b32_e32 v10, 0, v10, vcc
	v_cmp_gt_f64_e32 vcc, s[16:17], v[2:3]
	v_cndmask_b32_e64 v1, 0, 1, vcc
	v_lshlrev_b32_e32 v1, 8, v1
	v_ldexp_f64 v[14:15], v[2:3], v1
	v_rsq_f64_e32 v[16:17], v[14:15]
	v_add_f64 v[6:7], v[6:7], -v[12:13]
	v_mul_f64 v[6:7], v[6:7], 0.5
	v_mul_f64 v[6:7], v[10:11], v[6:7]
	v_mul_f64 v[10:11], v[14:15], v[16:17]
	v_mul_f64 v[12:13], v[16:17], 0.5
	v_fma_f64 v[16:17], -v[12:13], v[10:11], 0.5
	v_fmac_f64_e32 v[10:11], v[10:11], v[16:17]
	v_fma_f64 v[18:19], -v[10:11], v[10:11], v[14:15]
	v_fmac_f64_e32 v[12:13], v[12:13], v[16:17]
	v_fmac_f64_e32 v[10:11], v[18:19], v[12:13]
	v_fma_f64 v[16:17], -v[10:11], v[10:11], v[14:15]
	v_mov_b32_e32 v1, 0xffffff80
	v_fmac_f64_e32 v[10:11], v[16:17], v[12:13]
	v_cndmask_b32_e32 v1, 0, v1, vcc
	v_ldexp_f64 v[10:11], v[10:11], v1
	v_mov_b32_e32 v1, 0x260
	v_cmp_class_f64_e32 vcc, v[14:15], v1
	v_cndmask_b32_e32 v11, v11, v15, vcc
	v_cndmask_b32_e32 v10, v10, v14, vcc
	v_div_scale_f64 v[12:13], s[16:17], v[10:11], v[10:11], v[6:7]
	v_rcp_f64_e32 v[14:15], v[12:13]
	v_fma_f64 v[16:17], -v[12:13], v[14:15], 1.0
	v_fmac_f64_e32 v[14:15], v[14:15], v[16:17]
	v_fma_f64 v[16:17], -v[12:13], v[14:15], 1.0
	v_fmac_f64_e32 v[14:15], v[14:15], v[16:17]
	v_div_scale_f64 v[16:17], vcc, v[6:7], v[10:11], v[6:7]
	v_mul_f64 v[18:19], v[16:17], v[14:15]
	v_fma_f64 v[12:13], -v[12:13], v[18:19], v[16:17]
	s_nop 1
	v_div_fmas_f64 v[12:13], v[12:13], v[14:15], v[18:19]
	v_div_fixup_f64 v[6:7], v[12:13], v[10:11], v[6:7]
.LBB7_138:
	s_or_b64 exec, exec, s[14:15]
	s_mov_b32 s14, 0xe6a7fd77
	v_fma_f64 v[2:3], v[2:3], v[2:3], -2.0
	v_mov_b32_e32 v10, 0xc384c2aa
	v_mov_b32_e32 v11, 0x3d27fb0a
	s_mov_b32 s15, 0x3ca3cee1
	v_fmac_f64_e32 v[10:11], s[14:15], v[2:3]
	v_mov_b32_e32 v12, 0xe6a7fd77
	v_mov_b32_e32 v13, 0xbca3cee1
	s_mov_b32 s14, 0x47512144
	v_fmac_f64_e32 v[12:13], v[2:3], v[10:11]
	s_mov_b32 s15, 0x3da6c25c
	v_add_f64 v[12:13], v[12:13], s[14:15]
	s_mov_b32 s14, 0x67e58a13
	v_fma_f64 v[10:11], v[2:3], v[12:13], -v[10:11]
	s_mov_b32 s15, 0x3e205c13
	v_add_f64 v[10:11], v[10:11], s[14:15]
	s_mov_b32 s14, 0xe7f95efc
	v_fma_f64 v[12:13], v[2:3], v[10:11], -v[12:13]
	;; [unrolled: 4-line block ×7, first 2 shown]
	s_mov_b32 s15, 0xbfe12166
	v_add_f64 v[2:3], v[2:3], s[14:15]
	s_mov_b32 s14, 0x55555555
	v_add_f64 v[2:3], v[2:3], -v[10:11]
	v_frexp_mant_f64_e32 v[10:11], v[4:5]
	s_mov_b32 s15, 0x3fe55555
	v_mov_b32_e32 v9, 0x3ff00000
	v_cmp_gt_f64_e32 vcc, s[14:15], v[10:11]
	v_cndmask_b32_e64 v13, v9, 2.0, vcc
	v_mov_b32_e32 v12, 0
	v_mul_f64 v[10:11], v[10:11], v[12:13]
	v_add_f64 v[12:13], v[10:11], 1.0
	v_rcp_f64_e32 v[14:15], v[12:13]
	v_add_f64 v[18:19], v[12:13], -1.0
	v_add_f64 v[16:17], v[10:11], -1.0
	v_add_f64 v[10:11], v[10:11], -v[18:19]
	v_fma_f64 v[18:19], -v[12:13], v[14:15], 1.0
	v_fmac_f64_e32 v[14:15], v[18:19], v[14:15]
	v_fma_f64 v[18:19], -v[12:13], v[14:15], 1.0
	v_fmac_f64_e32 v[14:15], v[18:19], v[14:15]
	v_mul_f64 v[18:19], v[16:17], v[14:15]
	v_mul_f64 v[20:21], v[12:13], v[18:19]
	v_fma_f64 v[12:13], v[18:19], v[12:13], -v[20:21]
	v_fmac_f64_e32 v[12:13], v[18:19], v[10:11]
	v_add_f64 v[10:11], v[20:21], v[12:13]
	v_add_f64 v[22:23], v[16:17], -v[10:11]
	v_add_f64 v[20:21], v[10:11], -v[20:21]
	;; [unrolled: 1-line block ×5, first 2 shown]
	v_add_f64 v[10:11], v[12:13], v[10:11]
	v_add_f64 v[10:11], v[22:23], v[10:11]
	v_mul_f64 v[10:11], v[14:15], v[10:11]
	v_add_f64 v[12:13], v[18:19], v[10:11]
	v_add_f64 v[14:15], v[12:13], -v[18:19]
	s_mov_b32 s14, 0xbf559e2b
	v_add_f64 v[10:11], v[10:11], -v[14:15]
	v_mul_f64 v[14:15], v[12:13], v[12:13]
	v_mov_b32_e32 v16, 0x6b47b09a
	v_mov_b32_e32 v17, 0x3fc38538
	s_mov_b32 s15, 0x3fc3ab76
	v_fmac_f64_e32 v[16:17], s[14:15], v[14:15]
	v_mov_b32_e32 v18, 0xd7f4df2e
	v_mov_b32_e32 v19, 0x3fc7474d
	v_fmac_f64_e32 v[18:19], v[14:15], v[16:17]
	v_mov_b32_e32 v16, 0x16291751
	v_mov_b32_e32 v17, 0x3fcc71c0
	v_fmac_f64_e32 v[16:17], v[14:15], v[18:19]
	v_mov_b32_e32 v18, 0x9b27acf1
	v_mov_b32_e32 v19, 0x3fd24924
	v_fmac_f64_e32 v[18:19], v[14:15], v[16:17]
	v_mov_b32_e32 v16, 0x998ef7b6
	v_mov_b32_e32 v17, 0x3fd99999
	v_fmac_f64_e32 v[16:17], v[14:15], v[18:19]
	v_mov_b32_e32 v18, 0x55555780
	v_mov_b32_e32 v19, 0x3fe55555
	v_fmac_f64_e32 v[18:19], v[14:15], v[16:17]
	v_ldexp_f64 v[16:17], v[12:13], 1
	v_mul_f64 v[12:13], v[12:13], v[14:15]
	v_mul_f64 v[12:13], v[12:13], v[18:19]
	v_add_f64 v[14:15], v[16:17], v[12:13]
	v_add_f64 v[16:17], v[14:15], -v[16:17]
	v_ldexp_f64 v[10:11], v[10:11], 1
	v_add_f64 v[12:13], v[12:13], -v[16:17]
	v_add_f64 v[10:11], v[10:11], v[12:13]
	v_frexp_exp_i32_f64_e32 v1, v[4:5]
	v_add_f64 v[12:13], v[14:15], v[10:11]
	v_subbrev_co_u32_e32 v1, vcc, 0, v1, vcc
	v_add_f64 v[14:15], v[12:13], -v[14:15]
	s_mov_b32 s14, 0xfefa39ef
	v_add_f64 v[10:11], v[10:11], -v[14:15]
	v_cvt_f64_i32_e32 v[14:15], v1
	s_mov_b32 s15, 0x3fe62e42
	v_mul_f64 v[16:17], v[14:15], s[14:15]
	v_fma_f64 v[18:19], v[14:15], s[14:15], -v[16:17]
	s_mov_b32 s14, 0x3b39803f
	s_mov_b32 s15, 0x3c7abc9e
	v_fmac_f64_e32 v[18:19], s[14:15], v[14:15]
	v_add_f64 v[14:15], v[16:17], v[18:19]
	v_add_f64 v[16:17], v[14:15], -v[16:17]
	v_add_f64 v[16:17], v[18:19], -v[16:17]
	v_add_f64 v[18:19], v[14:15], v[12:13]
	v_add_f64 v[20:21], v[18:19], -v[14:15]
	v_add_f64 v[22:23], v[18:19], -v[20:21]
	;; [unrolled: 1-line block ×4, first 2 shown]
	v_add_f64 v[12:13], v[12:13], v[14:15]
	v_add_f64 v[14:15], v[16:17], v[10:11]
	v_add_f64 v[20:21], v[14:15], -v[16:17]
	v_add_f64 v[22:23], v[14:15], -v[20:21]
	v_add_f64 v[12:13], v[14:15], v[12:13]
	v_add_f64 v[16:17], v[16:17], -v[22:23]
	v_add_f64 v[10:11], v[10:11], -v[20:21]
	v_add_f64 v[14:15], v[18:19], v[12:13]
	v_add_f64 v[10:11], v[10:11], v[16:17]
	v_add_f64 v[16:17], v[14:15], -v[18:19]
	v_add_f64 v[12:13], v[12:13], -v[16:17]
	s_mov_b32 s14, 0
	v_add_f64 v[10:11], v[10:11], v[12:13]
	s_mov_b32 s15, 0x7ff00000
	v_add_f64 v[10:11], v[14:15], v[10:11]
	v_cmp_eq_f64_e32 vcc, s[14:15], v[4:5]
	v_cndmask_b32_e32 v1, v10, v4, vcc
	v_cndmask_b32_e32 v9, v11, v5, vcc
	v_mov_b32_e32 v10, 0xfff00000
	v_cmp_neq_f64_e32 vcc, 0, v[4:5]
	v_cndmask_b32_e32 v5, v10, v9, vcc
	v_cndmask_b32_e32 v4, 0, v1, vcc
	v_mul_f64 v[4:5], v[4:5], v[6:7]
	v_fma_f64 v[4:5], v[2:3], 0.5, -v[4:5]
                                        ; implicit-def: $vgpr2_vgpr3
.LBB7_139:
	s_andn2_saveexec_b64 s[12:13], s[12:13]
	s_cbranch_execz .LBB7_141
; %bb.140:
	s_mov_b32 s14, 0
	s_mov_b32 s15, 0x40200000
	v_div_scale_f64 v[4:5], s[16:17], v[2:3], v[2:3], s[14:15]
	v_rcp_f64_e32 v[6:7], v[4:5]
	v_mov_b32_e32 v14, 0xfca7ab0c
	v_mov_b32_e32 v15, 0x3e928af3
	;; [unrolled: 1-line block ×3, first 2 shown]
	v_fma_f64 v[10:11], -v[4:5], v[6:7], 1.0
	v_fmac_f64_e32 v[6:7], v[6:7], v[10:11]
	v_fma_f64 v[10:11], -v[4:5], v[6:7], 1.0
	v_fmac_f64_e32 v[6:7], v[6:7], v[10:11]
	v_div_scale_f64 v[10:11], vcc, s[14:15], v[2:3], s[14:15]
	v_mul_f64 v[12:13], v[10:11], v[6:7]
	v_fma_f64 v[4:5], -v[4:5], v[12:13], v[10:11]
	v_mov_b32_e32 v10, 0xcf8c9ee1
	s_nop 0
	v_div_fmas_f64 v[4:5], v[4:5], v[6:7], v[12:13]
	v_div_fixup_f64 v[4:5], v[4:5], v[2:3], s[14:15]
	s_mov_b32 s14, 0xcf8c9ee1
	v_add_f64 v[4:5], v[4:5], -2.0
	v_mov_b32_e32 v6, 0x93812603
	v_mov_b32_e32 v7, 0xbc72fecc
	s_mov_b32 s15, 0x3c5871a5
	v_fmac_f64_e32 v[6:7], s[14:15], v[4:5]
	v_mov_b32_e32 v11, 0xbc5871a5
	s_mov_b32 s14, 0x41a8cdf4
	v_fmac_f64_e32 v[10:11], v[4:5], v[6:7]
	s_mov_b32 s15, 0x3c8e092e
	v_add_f64 v[10:11], v[10:11], s[14:15]
	s_mov_b32 s14, 0x74d77641
	v_fma_f64 v[6:7], v[4:5], v[10:11], -v[6:7]
	s_mov_b32 s15, 0xbca82f94
	v_add_f64 v[6:7], v[6:7], s[14:15]
	s_mov_b32 s14, 0x6b94785b
	v_fma_f64 v[10:11], v[4:5], v[6:7], -v[10:11]
	;; [unrolled: 4-line block ×22, first 2 shown]
	s_mov_b32 s15, 0x400385bd
	v_add_f64 v[4:5], v[4:5], s[14:15]
	s_mov_b32 s14, 0x652b82fe
	s_mov_b32 s15, 0xbff71547
	v_mul_f64 v[6:7], v[2:3], s[14:15]
	s_mov_b32 s14, 0xfefa39ef
	v_rndne_f64_e32 v[6:7], v[6:7]
	s_mov_b32 s15, 0xbfe62e42
	v_fma_f64 v[12:13], v[6:7], s[14:15], -v[2:3]
	s_mov_b32 s14, 0x3b39803f
	s_mov_b32 s15, 0xbc7abc9e
	v_fmac_f64_e32 v[12:13], s[14:15], v[6:7]
	s_mov_b32 s14, 0x6a5dcb37
	s_mov_b32 s15, 0x3e5ade15
	v_fmac_f64_e32 v[14:15], s[14:15], v[12:13]
	v_mov_b32_e32 v17, 0x3ec71dee
	v_fmac_f64_e32 v[16:17], v[12:13], v[14:15]
	v_mov_b32_e32 v14, 0x7c89e6b0
	v_mov_b32_e32 v15, 0x3efa0199
	v_fmac_f64_e32 v[14:15], v[12:13], v[16:17]
	v_mov_b32_e32 v16, 0x14761f6e
	;; [unrolled: 3-line block ×7, first 2 shown]
	v_mov_b32_e32 v15, 0x3fe00000
	v_fmac_f64_e32 v[14:15], v[12:13], v[16:17]
	s_mov_b32 s14, 0
	v_fma_f64 v[14:15], v[12:13], v[14:15], 1.0
	s_mov_b32 s15, 0x4090cc00
	v_fma_f64 v[12:13], v[12:13], v[14:15], 1.0
	v_cvt_i32_f64_e32 v1, v[6:7]
	v_cmp_nlt_f64_e32 vcc, s[14:15], v[2:3]
	s_mov_b32 s14, 0
	v_ldexp_f64 v[6:7], v[12:13], v1
	s_brev_b32 s15, 8
	v_cndmask_b32_e32 v7, 0, v7, vcc
	v_cndmask_b32_e32 v6, 0, v6, vcc
	v_cmp_gt_f64_e32 vcc, s[14:15], v[2:3]
	v_cndmask_b32_e64 v1, 0, 1, vcc
	v_lshlrev_b32_e32 v1, 8, v1
	v_ldexp_f64 v[2:3], v[2:3], v1
	v_rsq_f64_e32 v[12:13], v[2:3]
	v_add_f64 v[4:5], v[4:5], -v[10:11]
	v_mul_f64 v[4:5], v[4:5], 0.5
	v_mul_f64 v[4:5], v[6:7], v[4:5]
	v_mul_f64 v[6:7], v[2:3], v[12:13]
	v_mul_f64 v[10:11], v[12:13], 0.5
	v_fma_f64 v[12:13], -v[10:11], v[6:7], 0.5
	v_fmac_f64_e32 v[6:7], v[6:7], v[12:13]
	v_fma_f64 v[14:15], -v[6:7], v[6:7], v[2:3]
	v_fmac_f64_e32 v[10:11], v[10:11], v[12:13]
	v_fmac_f64_e32 v[6:7], v[14:15], v[10:11]
	v_fma_f64 v[12:13], -v[6:7], v[6:7], v[2:3]
	v_mov_b32_e32 v1, 0xffffff80
	v_fmac_f64_e32 v[6:7], v[12:13], v[10:11]
	v_cndmask_b32_e32 v1, 0, v1, vcc
	v_ldexp_f64 v[6:7], v[6:7], v1
	v_mov_b32_e32 v1, 0x260
	v_cmp_class_f64_e32 vcc, v[2:3], v1
	v_cndmask_b32_e32 v3, v7, v3, vcc
	v_cndmask_b32_e32 v2, v6, v2, vcc
	v_div_scale_f64 v[6:7], s[14:15], v[2:3], v[2:3], v[4:5]
	v_rcp_f64_e32 v[10:11], v[6:7]
	v_fma_f64 v[12:13], -v[6:7], v[10:11], 1.0
	v_fmac_f64_e32 v[10:11], v[10:11], v[12:13]
	v_fma_f64 v[12:13], -v[6:7], v[10:11], 1.0
	v_fmac_f64_e32 v[10:11], v[10:11], v[12:13]
	v_div_scale_f64 v[12:13], vcc, v[4:5], v[2:3], v[4:5]
	v_mul_f64 v[14:15], v[12:13], v[10:11]
	v_fma_f64 v[6:7], -v[6:7], v[14:15], v[12:13]
	s_nop 1
	v_div_fmas_f64 v[6:7], v[6:7], v[10:11], v[14:15]
	v_div_fixup_f64 v[4:5], v[6:7], v[2:3], v[4:5]
.LBB7_141:
	s_or_b64 exec, exec, s[12:13]
.LBB7_142:
	s_or_b64 exec, exec, s[10:11]
.LBB7_143:
	s_or_b64 exec, exec, s[8:9]
	v_add_u32_e32 v8, 0x80, v8
	global_store_dwordx2 v0, v[4:5], s[0:1]
	s_or_b64 exec, exec, s[48:49]
	v_cmp_gt_i32_e32 vcc, s57, v8
	s_and_saveexec_b64 s[48:49], vcc
	s_cbranch_execnz .LBB7_17
.LBB7_144:
	s_or_b64 exec, exec, s[48:49]
	v_cmp_gt_i32_e32 vcc, s57, v8
	s_and_saveexec_b64 s[48:49], vcc
	s_cbranch_execz .LBB7_173
.LBB7_145:
	s_andn2_b64 vcc, exec, s[6:7]
	s_cbranch_vccnz .LBB7_151
; %bb.146:
	s_mov_b32 s50, 0
	s_andn2_b64 vcc, exec, s[46:47]
	v_mov_b32_e32 v2, 0
	v_mov_b32_e32 v0, 0
	s_cbranch_vccnz .LBB7_181
; %bb.147:
	s_add_i32 s59, s58, 1
	s_cmp_eq_u32 s56, 2
	s_cbranch_scc1 .LBB7_176
; %bb.148:
	s_and_b32 s50, s59, 28
	s_mov_b32 s51, 0
	v_mov_b32_e32 v0, 0
	s_mov_b64 s[52:53], s[4:5]
	s_mov_b64 s[54:55], s[44:45]
	v_mov_b32_e32 v3, v8
	v_mov_b32_e32 v2, 0
.LBB7_149:                              ; =>This Inner Loop Header: Depth=1
	s_load_dwordx8 s[16:23], s[52:53], 0x4
	s_load_dwordx4 s[36:39], s[52:53], 0x24
	s_load_dwordx8 s[8:15], s[54:55], 0x0
	s_add_u32 s52, s52, 48
	s_addc_u32 s53, s53, 0
	s_waitcnt lgkmcnt(0)
	v_mul_hi_u32 v1, s17, v3
	v_add_u32_e32 v1, v3, v1
	v_lshrrev_b32_e32 v1, s18, v1
	v_mul_lo_u32 v4, v1, s16
	v_mul_hi_u32 v5, s20, v1
	v_sub_u32_e32 v3, v3, v4
	v_add_u32_e32 v4, v1, v5
	v_lshrrev_b32_e32 v4, s21, v4
	v_mul_lo_u32 v6, v4, s19
	v_mul_hi_u32 v7, s23, v4
	v_sub_u32_e32 v1, v1, v6
	v_add_u32_e32 v6, v4, v7
	v_mul_lo_u32 v5, v3, s9
	v_mul_lo_u32 v3, v3, s8
	;; [unrolled: 1-line block ×4, first 2 shown]
	v_lshrrev_b32_e32 v6, s36, v6
	v_add3_u32 v0, v3, v0, v1
	v_mul_hi_u32 v3, s38, v6
	v_add_u32_e32 v3, v6, v3
	v_lshrrev_b32_e32 v3, s39, v3
	s_add_i32 s51, s51, 4
	v_add3_u32 v1, v5, v2, v7
	v_mul_lo_u32 v2, v6, s22
	v_mul_lo_u32 v5, v3, s37
	s_add_u32 s54, s54, 32
	v_sub_u32_e32 v2, v4, v2
	v_sub_u32_e32 v5, v6, v5
	s_addc_u32 s55, s55, 0
	v_mul_lo_u32 v4, v2, s12
	v_mul_lo_u32 v2, v2, s13
	;; [unrolled: 1-line block ×4, first 2 shown]
	s_cmp_eq_u32 s50, s51
	v_add3_u32 v2, v2, v1, v5
	v_add3_u32 v0, v4, v0, v6
	s_cbranch_scc0 .LBB7_149
; %bb.150:
	v_mov_b32_e32 v1, v2
	s_branch .LBB7_177
.LBB7_151:
                                        ; implicit-def: $vgpr2
                                        ; implicit-def: $vgpr0
	s_branch .LBB7_182
.LBB7_152:
	s_mov_b32 s51, s50
	v_pk_mov_b32 v[0:1], s[50:51], s[50:51] op_sel:[0,1]
                                        ; implicit-def: $vgpr2
	v_mov_b32_e32 v3, v8
.LBB7_153:
	s_and_b32 s12, s59, 3
	s_cmp_eq_u32 s12, 0
	s_cbranch_scc1 .LBB7_157
; %bb.154:
	s_lshl_b32 s8, s50, 3
	s_add_u32 s8, s8, s4
	s_addc_u32 s9, s5, 0
	s_add_u32 s8, s8, 0xc4
	s_addc_u32 s9, s9, 0
	s_mul_i32 s10, s50, 12
	s_add_u32 s10, s4, s10
	s_addc_u32 s11, s5, 0
.LBB7_155:                              ; =>This Inner Loop Header: Depth=1
	s_load_dwordx2 s[14:15], s[10:11], 0x4
	s_load_dword s13, s[10:11], 0xc
	s_load_dwordx2 s[16:17], s[8:9], 0x0
	v_mov_b32_e32 v2, v1
	s_add_u32 s10, s10, 12
	s_waitcnt lgkmcnt(0)
	v_mul_hi_u32 v1, s15, v3
	v_add_u32_e32 v1, v3, v1
	v_lshrrev_b32_e32 v1, s13, v1
	s_addc_u32 s11, s11, 0
	v_mul_lo_u32 v4, v1, s14
	s_add_u32 s8, s8, 8
	v_sub_u32_e32 v6, v3, v4
	v_mov_b32_e32 v3, v1
	s_addc_u32 s9, s9, 0
	s_add_i32 s12, s12, -1
	v_mad_u64_u32 v[4:5], s[14:15], v6, s17, v[2:3]
	v_mad_u64_u32 v[0:1], s[14:15], v6, s16, v[0:1]
	s_cmp_lg_u32 s12, 0
	v_mov_b32_e32 v1, v4
	s_cbranch_scc1 .LBB7_155
; %bb.156:
	v_mov_b32_e32 v2, v1
.LBB7_157:
	s_cbranch_execnz .LBB7_160
.LBB7_158:
	s_waitcnt lgkmcnt(0)
	v_mul_hi_u32 v0, s29, v8
	v_add_u32_e32 v0, v8, v0
	v_lshrrev_b32_e32 v1, s30, v0
	v_mul_lo_u32 v0, v1, s28
	v_sub_u32_e32 v0, v8, v0
	v_mul_lo_u32 v2, v0, s25
	s_andn2_b64 vcc, exec, s[42:43]
	v_mul_lo_u32 v0, v0, s24
	s_cbranch_vccnz .LBB7_160
; %bb.159:
	v_mul_hi_u32 v3, s40, v1
	v_add_u32_e32 v3, v1, v3
	v_lshrrev_b32_e32 v3, s41, v3
	v_mul_lo_u32 v3, v3, s31
	v_sub_u32_e32 v3, v1, v3
	v_mad_u64_u32 v[0:1], s[8:9], v3, s26, v[0:1]
	v_mad_u64_u32 v[2:3], s[8:9], v3, s27, v[2:3]
.LBB7_160:
	s_waitcnt lgkmcnt(0)
	global_load_dwordx2 v[2:3], v2, s[2:3]
	v_mov_b32_e32 v4, 0
	v_mov_b32_e32 v5, 0x7ff00000
	s_waitcnt vmcnt(0)
	v_cmp_neq_f64_e32 vcc, 0, v[2:3]
	s_and_saveexec_b64 s[8:9], vcc
	s_cbranch_execz .LBB7_172
; %bb.161:
	v_mov_b32_e32 v4, 0
	v_cmp_ngt_f64_e32 vcc, 0, v[2:3]
	v_mov_b32_e32 v5, 0x7ff80000
	s_and_saveexec_b64 s[10:11], vcc
	s_cbranch_execz .LBB7_171
; %bb.162:
	v_cmp_ge_f64_e32 vcc, 2.0, v[2:3]
                                        ; implicit-def: $vgpr4_vgpr5
	s_and_saveexec_b64 s[12:13], vcc
	s_xor_b64 s[12:13], exec, s[12:13]
	s_cbranch_execz .LBB7_168
; %bb.163:
	s_mov_b32 s14, 0
	s_mov_b32 s15, 0x40200000
	v_mul_f64 v[4:5], v[2:3], 0.5
	v_cmp_ge_f64_e32 vcc, s[14:15], v[2:3]
                                        ; implicit-def: $vgpr6_vgpr7
	s_and_saveexec_b64 s[14:15], vcc
	s_xor_b64 s[14:15], exec, s[14:15]
	s_cbranch_execz .LBB7_165
; %bb.164:
	s_mov_b32 s16, 0x2134d0ef
	v_add_f64 v[6:7], v[4:5], -2.0
	v_mov_b32_e32 v10, 0x977da589
	v_mov_b32_e32 v11, 0x3c833362
	s_mov_b32 s17, 0xbc545cb7
	v_fmac_f64_e32 v[10:11], s[16:17], v[6:7]
	v_mov_b32_e32 v12, 0x2134d0ef
	v_mov_b32_e32 v13, 0x3c545cb7
	s_mov_b32 s16, 0x721ebbb4
	v_fmac_f64_e32 v[12:13], v[6:7], v[10:11]
	s_mov_b32 s17, 0xbcb184eb
	v_add_f64 v[12:13], v[12:13], s[16:17]
	s_mov_b32 s16, 0x93f65eba
	v_fma_f64 v[10:11], v[6:7], v[12:13], -v[10:11]
	s_mov_b32 s17, 0x3cdee6d8
	v_add_f64 v[10:11], v[10:11], s[16:17]
	s_mov_b32 s16, 0xc297fbeb
	v_fma_f64 v[12:13], v[6:7], v[10:11], -v[12:13]
	s_mov_b32 s17, 0xbd0a5022
	v_add_f64 v[12:13], v[12:13], s[16:17]
	s_mov_b32 s16, 0x4b262627
	v_fma_f64 v[10:11], v[6:7], v[12:13], -v[10:11]
	s_mov_b32 s17, 0x3d359b46
	v_add_f64 v[10:11], v[10:11], s[16:17]
	s_mov_b32 s16, 0x62ee1af0
	v_fma_f64 v[12:13], v[6:7], v[10:11], -v[12:13]
	s_mov_b32 s17, 0xbd61164c
	v_add_f64 v[12:13], v[12:13], s[16:17]
	s_mov_b32 s16, 0xe19bd324
	v_fma_f64 v[10:11], v[6:7], v[12:13], -v[10:11]
	s_mov_b32 s17, 0x3d89fe2f
	v_add_f64 v[10:11], v[10:11], s[16:17]
	s_mov_b32 s16, 0x7a946abc
	v_fma_f64 v[12:13], v[6:7], v[10:11], -v[12:13]
	s_mov_b32 s17, 0xbdb2fc95
	v_add_f64 v[12:13], v[12:13], s[16:17]
	s_mov_b32 s16, 0xcc743c10
	v_fma_f64 v[10:11], v[6:7], v[12:13], -v[10:11]
	s_mov_b32 s17, 0x3dda98be
	v_add_f64 v[10:11], v[10:11], s[16:17]
	s_mov_b32 s16, 0x13ae9556
	v_fma_f64 v[12:13], v[6:7], v[10:11], -v[12:13]
	s_mov_b32 s17, 0xbe01d4fe
	v_add_f64 v[12:13], v[12:13], s[16:17]
	s_mov_b32 s16, 0xa454cb34
	v_fma_f64 v[10:11], v[6:7], v[12:13], -v[10:11]
	s_mov_b32 s17, 0x3e26d903
	v_add_f64 v[10:11], v[10:11], s[16:17]
	s_mov_b32 s16, 0x8c0b30ab
	v_fma_f64 v[12:13], v[6:7], v[10:11], -v[12:13]
	s_mov_b32 s17, 0xbe4beaf6
	v_add_f64 v[12:13], v[12:13], s[16:17]
	s_mov_b32 s16, 0x9d4d6435
	v_fma_f64 v[10:11], v[6:7], v[12:13], -v[10:11]
	s_mov_b32 s17, 0x3e703b76
	v_add_f64 v[10:11], v[10:11], s[16:17]
	s_mov_b32 s16, 0x8f227f8d
	v_fma_f64 v[12:13], v[6:7], v[10:11], -v[12:13]
	s_mov_b32 s17, 0xbe91ec63
	v_add_f64 v[12:13], v[12:13], s[16:17]
	s_mov_b32 s16, 0x978cf4ac
	v_fma_f64 v[10:11], v[6:7], v[12:13], -v[10:11]
	s_mov_b32 s17, 0x3eb2bf24
	v_add_f64 v[10:11], v[10:11], s[16:17]
	s_mov_b32 s16, 0xcba56427
	v_fma_f64 v[12:13], v[6:7], v[10:11], -v[12:13]
	s_mov_b32 s17, 0xbed2866f
	v_add_f64 v[12:13], v[12:13], s[16:17]
	s_mov_b32 s16, 0xbe9a2859
	v_fma_f64 v[10:11], v[6:7], v[12:13], -v[10:11]
	s_mov_b32 s17, 0x3ef13f58
	v_add_f64 v[10:11], v[10:11], s[16:17]
	s_mov_b32 s16, 0x59c41d5a
	v_fma_f64 v[12:13], v[6:7], v[10:11], -v[12:13]
	s_mov_b32 s17, 0xbf0e2b26
	v_add_f64 v[12:13], v[12:13], s[16:17]
	s_mov_b32 s16, 0x74107cab
	v_fma_f64 v[10:11], v[6:7], v[12:13], -v[10:11]
	s_mov_b32 s17, 0x3f28b51b
	v_add_f64 v[10:11], v[10:11], s[16:17]
	s_mov_b32 s16, 0x1f15eb52
	v_fma_f64 v[12:13], v[6:7], v[10:11], -v[12:13]
	s_mov_b32 s17, 0xbf42e2fd
	v_add_f64 v[12:13], v[12:13], s[16:17]
	s_mov_b32 s16, 0x8a12100e
	v_fma_f64 v[10:11], v[6:7], v[12:13], -v[10:11]
	s_mov_b32 s17, 0x3f5adc75
	v_add_f64 v[10:11], v[10:11], s[16:17]
	s_mov_b32 s16, 0x201aa849
	v_fma_f64 v[12:13], v[6:7], v[10:11], -v[12:13]
	s_mov_b32 s17, 0xbf71b65e
	v_add_f64 v[12:13], v[12:13], s[16:17]
	s_mov_b32 s16, 0xf3dde3dd
	v_fma_f64 v[10:11], v[6:7], v[12:13], -v[10:11]
	s_mov_b32 s17, 0x3f859961
	v_add_f64 v[10:11], v[10:11], s[16:17]
	s_mov_b32 s16, 0xf121b6f0
	v_fma_f64 v[12:13], v[6:7], v[10:11], -v[12:13]
	s_mov_b32 s17, 0xbf984e9e
	v_add_f64 v[12:13], v[12:13], s[16:17]
	s_mov_b32 s16, 0xcea8a32d
	v_fma_f64 v[10:11], v[6:7], v[12:13], -v[10:11]
	s_mov_b32 s17, 0x3fa93e8a
	v_add_f64 v[10:11], v[10:11], s[16:17]
	s_mov_b32 s16, 0x342d06ea
	v_fma_f64 v[12:13], v[6:7], v[10:11], -v[12:13]
	s_mov_b32 s17, 0xbfb84b70
	v_add_f64 v[12:13], v[12:13], s[16:17]
	s_mov_b32 s16, 0x77ac88c0
	v_fma_f64 v[10:11], v[6:7], v[12:13], -v[10:11]
	s_mov_b32 s17, 0x3fc5f7ac
	v_add_f64 v[10:11], v[10:11], s[16:17]
	s_mov_b32 s16, 0xc057cd8d
	v_fma_f64 v[12:13], v[6:7], v[10:11], -v[12:13]
	s_mov_b32 s17, 0xbfd37feb
	v_add_f64 v[12:13], v[12:13], s[16:17]
	s_mov_b32 s16, 0x9035a22a
	v_fma_f64 v[6:7], v[6:7], v[12:13], -v[10:11]
	s_mov_b32 s17, 0x3fe5a84e
	v_add_f64 v[6:7], v[6:7], s[16:17]
	s_mov_b32 s16, 0x652b82fe
	s_mov_b32 s17, 0x3ff71547
	v_mul_f64 v[12:13], v[2:3], s[16:17]
	s_mov_b32 s16, 0xfefa39ef
	v_rndne_f64_e32 v[12:13], v[12:13]
	s_mov_b32 s17, 0xbfe62e42
	v_fma_f64 v[14:15], s[16:17], v[12:13], v[2:3]
	s_mov_b32 s16, 0x3b39803f
	s_mov_b32 s17, 0xbc7abc9e
	v_fmac_f64_e32 v[14:15], s[16:17], v[12:13]
	s_mov_b32 s16, 0x6a5dcb37
	v_mov_b32_e32 v16, 0xfca7ab0c
	v_mov_b32_e32 v17, 0x3e928af3
	s_mov_b32 s17, 0x3e5ade15
	v_fmac_f64_e32 v[16:17], s[16:17], v[14:15]
	v_mov_b32_e32 v18, 0x623fde64
	v_mov_b32_e32 v19, 0x3ec71dee
	v_fmac_f64_e32 v[18:19], v[14:15], v[16:17]
	v_mov_b32_e32 v16, 0x7c89e6b0
	v_mov_b32_e32 v17, 0x3efa0199
	;; [unrolled: 3-line block ×8, first 2 shown]
	v_fmac_f64_e32 v[16:17], v[14:15], v[18:19]
	v_fma_f64 v[16:17], v[14:15], v[16:17], 1.0
	s_mov_b32 s16, 0
	v_fma_f64 v[14:15], v[14:15], v[16:17], 1.0
	v_cvt_i32_f64_e32 v1, v[12:13]
	s_mov_b32 s17, 0x40900000
	v_ldexp_f64 v[12:13], v[14:15], v1
	v_mov_b32_e32 v1, 0x7ff00000
	v_cmp_nlt_f64_e32 vcc, s[16:17], v[2:3]
	v_add_f64 v[6:7], v[6:7], -v[10:11]
	v_cndmask_b32_e32 v13, v1, v13, vcc
	v_cndmask_b32_e32 v12, 0, v12, vcc
	v_mul_f64 v[6:7], v[6:7], 0.5
	v_mul_f64 v[6:7], v[12:13], v[6:7]
.LBB7_165:
	s_andn2_saveexec_b64 s[14:15], s[14:15]
	s_cbranch_execz .LBB7_167
; %bb.166:
	s_mov_b32 s16, 0
	s_mov_b32 s17, 0x40400000
	v_div_scale_f64 v[6:7], s[18:19], v[2:3], v[2:3], s[16:17]
	v_rcp_f64_e32 v[10:11], v[6:7]
	v_mov_b32_e32 v16, 0xfca7ab0c
	v_mov_b32_e32 v17, 0x3e928af3
	;; [unrolled: 1-line block ×3, first 2 shown]
	v_fma_f64 v[12:13], -v[6:7], v[10:11], 1.0
	v_fmac_f64_e32 v[10:11], v[10:11], v[12:13]
	v_fma_f64 v[12:13], -v[6:7], v[10:11], 1.0
	v_fmac_f64_e32 v[10:11], v[10:11], v[12:13]
	v_div_scale_f64 v[12:13], vcc, s[16:17], v[2:3], s[16:17]
	v_mul_f64 v[14:15], v[12:13], v[10:11]
	v_fma_f64 v[6:7], -v[6:7], v[14:15], v[12:13]
	v_mov_b32_e32 v12, 0x54ca8b19
	s_nop 0
	v_div_fmas_f64 v[6:7], v[6:7], v[10:11], v[14:15]
	v_div_fixup_f64 v[6:7], v[6:7], v[2:3], s[16:17]
	s_mov_b32 s16, 0x54ca8b19
	v_add_f64 v[6:7], v[6:7], -2.0
	v_mov_b32_e32 v10, 0x66119130
	v_mov_b32_e32 v11, 0xbc5646da
	s_mov_b32 s17, 0xbc60adb7
	v_fmac_f64_e32 v[10:11], s[16:17], v[6:7]
	v_mov_b32_e32 v13, 0x3c60adb7
	s_mov_b32 s16, 0x12d98421
	v_fmac_f64_e32 v[12:13], v[6:7], v[10:11]
	s_mov_b32 s17, 0x3c89be18
	v_add_f64 v[12:13], v[12:13], s[16:17]
	s_mov_b32 s16, 0x76041cd
	v_fma_f64 v[10:11], v[6:7], v[12:13], -v[10:11]
	s_mov_b32 s17, 0x3c83f3dd
	v_add_f64 v[10:11], v[10:11], s[16:17]
	s_mov_b32 s16, 0xabd21fe4
	v_fma_f64 v[12:13], v[6:7], v[10:11], -v[12:13]
	;; [unrolled: 4-line block ×22, first 2 shown]
	s_mov_b32 s17, 0x3fe9be62
	v_add_f64 v[6:7], v[6:7], s[16:17]
	s_mov_b32 s16, 0x652b82fe
	s_mov_b32 s17, 0x3ff71547
	v_mul_f64 v[10:11], v[2:3], s[16:17]
	s_mov_b32 s16, 0xfefa39ef
	v_rndne_f64_e32 v[10:11], v[10:11]
	s_mov_b32 s17, 0xbfe62e42
	v_fma_f64 v[14:15], s[16:17], v[10:11], v[2:3]
	s_mov_b32 s16, 0x3b39803f
	s_mov_b32 s17, 0xbc7abc9e
	v_fmac_f64_e32 v[14:15], s[16:17], v[10:11]
	s_mov_b32 s16, 0x6a5dcb37
	s_mov_b32 s17, 0x3e5ade15
	v_fmac_f64_e32 v[16:17], s[16:17], v[14:15]
	v_mov_b32_e32 v19, 0x3ec71dee
	v_fmac_f64_e32 v[18:19], v[14:15], v[16:17]
	v_mov_b32_e32 v16, 0x7c89e6b0
	v_mov_b32_e32 v17, 0x3efa0199
	v_fmac_f64_e32 v[16:17], v[14:15], v[18:19]
	v_mov_b32_e32 v18, 0x14761f6e
	;; [unrolled: 3-line block ×7, first 2 shown]
	v_mov_b32_e32 v17, 0x3fe00000
	v_fmac_f64_e32 v[16:17], v[14:15], v[18:19]
	s_mov_b32 s16, 0
	v_fma_f64 v[16:17], v[14:15], v[16:17], 1.0
	s_mov_b32 s17, 0x40900000
	v_fma_f64 v[14:15], v[14:15], v[16:17], 1.0
	v_cvt_i32_f64_e32 v1, v[10:11]
	v_cmp_nlt_f64_e32 vcc, s[16:17], v[2:3]
	s_mov_b32 s16, 0
	v_ldexp_f64 v[10:11], v[14:15], v1
	v_mov_b32_e32 v1, 0x7ff00000
	s_brev_b32 s17, 8
	v_cndmask_b32_e32 v11, v1, v11, vcc
	v_cndmask_b32_e32 v10, 0, v10, vcc
	v_cmp_gt_f64_e32 vcc, s[16:17], v[2:3]
	v_cndmask_b32_e64 v1, 0, 1, vcc
	v_lshlrev_b32_e32 v1, 8, v1
	v_ldexp_f64 v[14:15], v[2:3], v1
	v_rsq_f64_e32 v[16:17], v[14:15]
	v_add_f64 v[6:7], v[6:7], -v[12:13]
	v_mul_f64 v[6:7], v[6:7], 0.5
	v_mul_f64 v[6:7], v[10:11], v[6:7]
	v_mul_f64 v[10:11], v[14:15], v[16:17]
	v_mul_f64 v[12:13], v[16:17], 0.5
	v_fma_f64 v[16:17], -v[12:13], v[10:11], 0.5
	v_fmac_f64_e32 v[10:11], v[10:11], v[16:17]
	v_fma_f64 v[18:19], -v[10:11], v[10:11], v[14:15]
	v_fmac_f64_e32 v[12:13], v[12:13], v[16:17]
	v_fmac_f64_e32 v[10:11], v[18:19], v[12:13]
	v_fma_f64 v[16:17], -v[10:11], v[10:11], v[14:15]
	v_mov_b32_e32 v1, 0xffffff80
	v_fmac_f64_e32 v[10:11], v[16:17], v[12:13]
	v_cndmask_b32_e32 v1, 0, v1, vcc
	v_ldexp_f64 v[10:11], v[10:11], v1
	v_mov_b32_e32 v1, 0x260
	v_cmp_class_f64_e32 vcc, v[14:15], v1
	v_cndmask_b32_e32 v11, v11, v15, vcc
	v_cndmask_b32_e32 v10, v10, v14, vcc
	v_div_scale_f64 v[12:13], s[16:17], v[10:11], v[10:11], v[6:7]
	v_rcp_f64_e32 v[14:15], v[12:13]
	v_fma_f64 v[16:17], -v[12:13], v[14:15], 1.0
	v_fmac_f64_e32 v[14:15], v[14:15], v[16:17]
	v_fma_f64 v[16:17], -v[12:13], v[14:15], 1.0
	v_fmac_f64_e32 v[14:15], v[14:15], v[16:17]
	v_div_scale_f64 v[16:17], vcc, v[6:7], v[10:11], v[6:7]
	v_mul_f64 v[18:19], v[16:17], v[14:15]
	v_fma_f64 v[12:13], -v[12:13], v[18:19], v[16:17]
	s_nop 1
	v_div_fmas_f64 v[12:13], v[12:13], v[14:15], v[18:19]
	v_div_fixup_f64 v[6:7], v[12:13], v[10:11], v[6:7]
.LBB7_167:
	s_or_b64 exec, exec, s[14:15]
	s_mov_b32 s14, 0xe6a7fd77
	v_fma_f64 v[2:3], v[2:3], v[2:3], -2.0
	v_mov_b32_e32 v10, 0xc384c2aa
	v_mov_b32_e32 v11, 0x3d27fb0a
	s_mov_b32 s15, 0x3ca3cee1
	v_fmac_f64_e32 v[10:11], s[14:15], v[2:3]
	v_mov_b32_e32 v12, 0xe6a7fd77
	v_mov_b32_e32 v13, 0xbca3cee1
	s_mov_b32 s14, 0x47512144
	v_fmac_f64_e32 v[12:13], v[2:3], v[10:11]
	s_mov_b32 s15, 0x3da6c25c
	v_add_f64 v[12:13], v[12:13], s[14:15]
	s_mov_b32 s14, 0x67e58a13
	v_fma_f64 v[10:11], v[2:3], v[12:13], -v[10:11]
	s_mov_b32 s15, 0x3e205c13
	v_add_f64 v[10:11], v[10:11], s[14:15]
	s_mov_b32 s14, 0xe7f95efc
	v_fma_f64 v[12:13], v[2:3], v[10:11], -v[12:13]
	;; [unrolled: 4-line block ×7, first 2 shown]
	s_mov_b32 s15, 0xbfe12166
	v_add_f64 v[2:3], v[2:3], s[14:15]
	s_mov_b32 s14, 0x55555555
	v_add_f64 v[2:3], v[2:3], -v[10:11]
	v_frexp_mant_f64_e32 v[10:11], v[4:5]
	s_mov_b32 s15, 0x3fe55555
	v_mov_b32_e32 v9, 0x3ff00000
	v_cmp_gt_f64_e32 vcc, s[14:15], v[10:11]
	v_cndmask_b32_e64 v13, v9, 2.0, vcc
	v_mov_b32_e32 v12, 0
	v_mul_f64 v[10:11], v[10:11], v[12:13]
	v_add_f64 v[12:13], v[10:11], 1.0
	v_rcp_f64_e32 v[14:15], v[12:13]
	v_add_f64 v[18:19], v[12:13], -1.0
	v_add_f64 v[16:17], v[10:11], -1.0
	v_add_f64 v[10:11], v[10:11], -v[18:19]
	v_fma_f64 v[18:19], -v[12:13], v[14:15], 1.0
	v_fmac_f64_e32 v[14:15], v[18:19], v[14:15]
	v_fma_f64 v[18:19], -v[12:13], v[14:15], 1.0
	v_fmac_f64_e32 v[14:15], v[18:19], v[14:15]
	v_mul_f64 v[18:19], v[16:17], v[14:15]
	v_mul_f64 v[20:21], v[12:13], v[18:19]
	v_fma_f64 v[12:13], v[18:19], v[12:13], -v[20:21]
	v_fmac_f64_e32 v[12:13], v[18:19], v[10:11]
	v_add_f64 v[10:11], v[20:21], v[12:13]
	v_add_f64 v[22:23], v[16:17], -v[10:11]
	v_add_f64 v[20:21], v[10:11], -v[20:21]
	;; [unrolled: 1-line block ×5, first 2 shown]
	v_add_f64 v[10:11], v[12:13], v[10:11]
	v_add_f64 v[10:11], v[22:23], v[10:11]
	v_mul_f64 v[10:11], v[14:15], v[10:11]
	v_add_f64 v[12:13], v[18:19], v[10:11]
	v_add_f64 v[14:15], v[12:13], -v[18:19]
	s_mov_b32 s14, 0xbf559e2b
	v_add_f64 v[10:11], v[10:11], -v[14:15]
	v_mul_f64 v[14:15], v[12:13], v[12:13]
	v_mov_b32_e32 v16, 0x6b47b09a
	v_mov_b32_e32 v17, 0x3fc38538
	s_mov_b32 s15, 0x3fc3ab76
	v_fmac_f64_e32 v[16:17], s[14:15], v[14:15]
	v_mov_b32_e32 v18, 0xd7f4df2e
	v_mov_b32_e32 v19, 0x3fc7474d
	v_fmac_f64_e32 v[18:19], v[14:15], v[16:17]
	v_mov_b32_e32 v16, 0x16291751
	v_mov_b32_e32 v17, 0x3fcc71c0
	;; [unrolled: 3-line block ×5, first 2 shown]
	v_fmac_f64_e32 v[18:19], v[14:15], v[16:17]
	v_ldexp_f64 v[16:17], v[12:13], 1
	v_mul_f64 v[12:13], v[12:13], v[14:15]
	v_mul_f64 v[12:13], v[12:13], v[18:19]
	v_add_f64 v[14:15], v[16:17], v[12:13]
	v_add_f64 v[16:17], v[14:15], -v[16:17]
	v_ldexp_f64 v[10:11], v[10:11], 1
	v_add_f64 v[12:13], v[12:13], -v[16:17]
	v_add_f64 v[10:11], v[10:11], v[12:13]
	v_frexp_exp_i32_f64_e32 v1, v[4:5]
	v_add_f64 v[12:13], v[14:15], v[10:11]
	v_subbrev_co_u32_e32 v1, vcc, 0, v1, vcc
	v_add_f64 v[14:15], v[12:13], -v[14:15]
	s_mov_b32 s14, 0xfefa39ef
	v_add_f64 v[10:11], v[10:11], -v[14:15]
	v_cvt_f64_i32_e32 v[14:15], v1
	s_mov_b32 s15, 0x3fe62e42
	v_mul_f64 v[16:17], v[14:15], s[14:15]
	v_fma_f64 v[18:19], v[14:15], s[14:15], -v[16:17]
	s_mov_b32 s14, 0x3b39803f
	s_mov_b32 s15, 0x3c7abc9e
	v_fmac_f64_e32 v[18:19], s[14:15], v[14:15]
	v_add_f64 v[14:15], v[16:17], v[18:19]
	v_add_f64 v[16:17], v[14:15], -v[16:17]
	v_add_f64 v[16:17], v[18:19], -v[16:17]
	v_add_f64 v[18:19], v[14:15], v[12:13]
	v_add_f64 v[20:21], v[18:19], -v[14:15]
	v_add_f64 v[22:23], v[18:19], -v[20:21]
	;; [unrolled: 1-line block ×4, first 2 shown]
	v_add_f64 v[12:13], v[12:13], v[14:15]
	v_add_f64 v[14:15], v[16:17], v[10:11]
	v_add_f64 v[20:21], v[14:15], -v[16:17]
	v_add_f64 v[22:23], v[14:15], -v[20:21]
	v_add_f64 v[12:13], v[14:15], v[12:13]
	v_add_f64 v[16:17], v[16:17], -v[22:23]
	v_add_f64 v[10:11], v[10:11], -v[20:21]
	v_add_f64 v[14:15], v[18:19], v[12:13]
	v_add_f64 v[10:11], v[10:11], v[16:17]
	v_add_f64 v[16:17], v[14:15], -v[18:19]
	v_add_f64 v[12:13], v[12:13], -v[16:17]
	s_mov_b32 s14, 0
	v_add_f64 v[10:11], v[10:11], v[12:13]
	s_mov_b32 s15, 0x7ff00000
	v_add_f64 v[10:11], v[14:15], v[10:11]
	v_cmp_eq_f64_e32 vcc, s[14:15], v[4:5]
	v_cndmask_b32_e32 v1, v10, v4, vcc
	v_cndmask_b32_e32 v9, v11, v5, vcc
	v_mov_b32_e32 v10, 0xfff00000
	v_cmp_neq_f64_e32 vcc, 0, v[4:5]
	v_cndmask_b32_e32 v5, v10, v9, vcc
	v_cndmask_b32_e32 v4, 0, v1, vcc
	v_mul_f64 v[4:5], v[4:5], v[6:7]
	v_fma_f64 v[4:5], v[2:3], 0.5, -v[4:5]
                                        ; implicit-def: $vgpr2_vgpr3
.LBB7_168:
	s_andn2_saveexec_b64 s[12:13], s[12:13]
	s_cbranch_execz .LBB7_170
; %bb.169:
	s_mov_b32 s14, 0
	s_mov_b32 s15, 0x40200000
	v_div_scale_f64 v[4:5], s[16:17], v[2:3], v[2:3], s[14:15]
	v_rcp_f64_e32 v[6:7], v[4:5]
	v_mov_b32_e32 v14, 0xfca7ab0c
	v_mov_b32_e32 v15, 0x3e928af3
	;; [unrolled: 1-line block ×3, first 2 shown]
	v_fma_f64 v[10:11], -v[4:5], v[6:7], 1.0
	v_fmac_f64_e32 v[6:7], v[6:7], v[10:11]
	v_fma_f64 v[10:11], -v[4:5], v[6:7], 1.0
	v_fmac_f64_e32 v[6:7], v[6:7], v[10:11]
	v_div_scale_f64 v[10:11], vcc, s[14:15], v[2:3], s[14:15]
	v_mul_f64 v[12:13], v[10:11], v[6:7]
	v_fma_f64 v[4:5], -v[4:5], v[12:13], v[10:11]
	v_mov_b32_e32 v10, 0xcf8c9ee1
	s_nop 0
	v_div_fmas_f64 v[4:5], v[4:5], v[6:7], v[12:13]
	v_div_fixup_f64 v[4:5], v[4:5], v[2:3], s[14:15]
	s_mov_b32 s14, 0xcf8c9ee1
	v_add_f64 v[4:5], v[4:5], -2.0
	v_mov_b32_e32 v6, 0x93812603
	v_mov_b32_e32 v7, 0xbc72fecc
	s_mov_b32 s15, 0x3c5871a5
	v_fmac_f64_e32 v[6:7], s[14:15], v[4:5]
	v_mov_b32_e32 v11, 0xbc5871a5
	s_mov_b32 s14, 0x41a8cdf4
	v_fmac_f64_e32 v[10:11], v[4:5], v[6:7]
	s_mov_b32 s15, 0x3c8e092e
	v_add_f64 v[10:11], v[10:11], s[14:15]
	s_mov_b32 s14, 0x74d77641
	v_fma_f64 v[6:7], v[4:5], v[10:11], -v[6:7]
	s_mov_b32 s15, 0xbca82f94
	v_add_f64 v[6:7], v[6:7], s[14:15]
	s_mov_b32 s14, 0x6b94785b
	v_fma_f64 v[10:11], v[4:5], v[6:7], -v[10:11]
	;; [unrolled: 4-line block ×22, first 2 shown]
	s_mov_b32 s15, 0x400385bd
	v_add_f64 v[4:5], v[4:5], s[14:15]
	s_mov_b32 s14, 0x652b82fe
	s_mov_b32 s15, 0xbff71547
	v_mul_f64 v[6:7], v[2:3], s[14:15]
	s_mov_b32 s14, 0xfefa39ef
	v_rndne_f64_e32 v[6:7], v[6:7]
	s_mov_b32 s15, 0xbfe62e42
	v_fma_f64 v[12:13], v[6:7], s[14:15], -v[2:3]
	s_mov_b32 s14, 0x3b39803f
	s_mov_b32 s15, 0xbc7abc9e
	v_fmac_f64_e32 v[12:13], s[14:15], v[6:7]
	s_mov_b32 s14, 0x6a5dcb37
	s_mov_b32 s15, 0x3e5ade15
	v_fmac_f64_e32 v[14:15], s[14:15], v[12:13]
	v_mov_b32_e32 v17, 0x3ec71dee
	v_fmac_f64_e32 v[16:17], v[12:13], v[14:15]
	v_mov_b32_e32 v14, 0x7c89e6b0
	v_mov_b32_e32 v15, 0x3efa0199
	v_fmac_f64_e32 v[14:15], v[12:13], v[16:17]
	v_mov_b32_e32 v16, 0x14761f6e
	;; [unrolled: 3-line block ×7, first 2 shown]
	v_mov_b32_e32 v15, 0x3fe00000
	v_fmac_f64_e32 v[14:15], v[12:13], v[16:17]
	s_mov_b32 s14, 0
	v_fma_f64 v[14:15], v[12:13], v[14:15], 1.0
	s_mov_b32 s15, 0x4090cc00
	v_fma_f64 v[12:13], v[12:13], v[14:15], 1.0
	v_cvt_i32_f64_e32 v1, v[6:7]
	v_cmp_nlt_f64_e32 vcc, s[14:15], v[2:3]
	s_mov_b32 s14, 0
	v_ldexp_f64 v[6:7], v[12:13], v1
	s_brev_b32 s15, 8
	v_cndmask_b32_e32 v7, 0, v7, vcc
	v_cndmask_b32_e32 v6, 0, v6, vcc
	v_cmp_gt_f64_e32 vcc, s[14:15], v[2:3]
	v_cndmask_b32_e64 v1, 0, 1, vcc
	v_lshlrev_b32_e32 v1, 8, v1
	v_ldexp_f64 v[2:3], v[2:3], v1
	v_rsq_f64_e32 v[12:13], v[2:3]
	v_add_f64 v[4:5], v[4:5], -v[10:11]
	v_mul_f64 v[4:5], v[4:5], 0.5
	v_mul_f64 v[4:5], v[6:7], v[4:5]
	v_mul_f64 v[6:7], v[2:3], v[12:13]
	v_mul_f64 v[10:11], v[12:13], 0.5
	v_fma_f64 v[12:13], -v[10:11], v[6:7], 0.5
	v_fmac_f64_e32 v[6:7], v[6:7], v[12:13]
	v_fma_f64 v[14:15], -v[6:7], v[6:7], v[2:3]
	v_fmac_f64_e32 v[10:11], v[10:11], v[12:13]
	v_fmac_f64_e32 v[6:7], v[14:15], v[10:11]
	v_fma_f64 v[12:13], -v[6:7], v[6:7], v[2:3]
	v_mov_b32_e32 v1, 0xffffff80
	v_fmac_f64_e32 v[6:7], v[12:13], v[10:11]
	v_cndmask_b32_e32 v1, 0, v1, vcc
	v_ldexp_f64 v[6:7], v[6:7], v1
	v_mov_b32_e32 v1, 0x260
	v_cmp_class_f64_e32 vcc, v[2:3], v1
	v_cndmask_b32_e32 v3, v7, v3, vcc
	v_cndmask_b32_e32 v2, v6, v2, vcc
	v_div_scale_f64 v[6:7], s[14:15], v[2:3], v[2:3], v[4:5]
	v_rcp_f64_e32 v[10:11], v[6:7]
	v_fma_f64 v[12:13], -v[6:7], v[10:11], 1.0
	v_fmac_f64_e32 v[10:11], v[10:11], v[12:13]
	v_fma_f64 v[12:13], -v[6:7], v[10:11], 1.0
	v_fmac_f64_e32 v[10:11], v[10:11], v[12:13]
	v_div_scale_f64 v[12:13], vcc, v[4:5], v[2:3], v[4:5]
	v_mul_f64 v[14:15], v[12:13], v[10:11]
	v_fma_f64 v[6:7], -v[6:7], v[14:15], v[12:13]
	s_nop 1
	v_div_fmas_f64 v[6:7], v[6:7], v[10:11], v[14:15]
	v_div_fixup_f64 v[4:5], v[6:7], v[2:3], v[4:5]
.LBB7_170:
	s_or_b64 exec, exec, s[12:13]
.LBB7_171:
	s_or_b64 exec, exec, s[10:11]
.LBB7_172:
	s_or_b64 exec, exec, s[8:9]
	v_add_u32_e32 v8, 0x80, v8
	global_store_dwordx2 v0, v[4:5], s[0:1]
	s_or_b64 exec, exec, s[48:49]
	v_cmp_gt_i32_e32 vcc, s57, v8
	s_and_saveexec_b64 s[48:49], vcc
	s_cbranch_execnz .LBB7_145
.LBB7_173:
	s_or_b64 exec, exec, s[48:49]
	v_cmp_gt_i32_e32 vcc, s57, v8
	s_and_saveexec_b64 s[48:49], vcc
	s_cbranch_execnz .LBB7_197
.LBB7_174:
	s_or_b64 exec, exec, s[48:49]
                                        ; implicit-def: $vgpr9
                                        ; implicit-def: $vgpr8
	s_waitcnt lgkmcnt(0)
	s_andn2_saveexec_b64 s[0:1], s[34:35]
	s_cbranch_execnz .LBB7_9
.LBB7_175:
	s_endpgm
.LBB7_176:
	s_mov_b32 s51, s50
	v_pk_mov_b32 v[0:1], s[50:51], s[50:51] op_sel:[0,1]
                                        ; implicit-def: $vgpr2
	v_mov_b32_e32 v3, v8
.LBB7_177:
	s_and_b32 s12, s59, 3
	s_cmp_eq_u32 s12, 0
	s_cbranch_scc1 .LBB7_181
; %bb.178:
	s_lshl_b32 s8, s50, 3
	s_add_u32 s8, s8, s4
	s_addc_u32 s9, s5, 0
	s_add_u32 s8, s8, 0xc4
	s_addc_u32 s9, s9, 0
	s_mul_i32 s10, s50, 12
	s_add_u32 s10, s4, s10
	s_addc_u32 s11, s5, 0
.LBB7_179:                              ; =>This Inner Loop Header: Depth=1
	s_load_dwordx2 s[14:15], s[10:11], 0x4
	s_load_dword s13, s[10:11], 0xc
	s_load_dwordx2 s[16:17], s[8:9], 0x0
	v_mov_b32_e32 v2, v1
	s_add_u32 s10, s10, 12
	s_waitcnt lgkmcnt(0)
	v_mul_hi_u32 v1, s15, v3
	v_add_u32_e32 v1, v3, v1
	v_lshrrev_b32_e32 v1, s13, v1
	s_addc_u32 s11, s11, 0
	v_mul_lo_u32 v4, v1, s14
	s_add_u32 s8, s8, 8
	v_sub_u32_e32 v6, v3, v4
	v_mov_b32_e32 v3, v1
	s_addc_u32 s9, s9, 0
	s_add_i32 s12, s12, -1
	v_mad_u64_u32 v[4:5], s[14:15], v6, s17, v[2:3]
	v_mad_u64_u32 v[0:1], s[14:15], v6, s16, v[0:1]
	s_cmp_lg_u32 s12, 0
	v_mov_b32_e32 v1, v4
	s_cbranch_scc1 .LBB7_179
; %bb.180:
	v_mov_b32_e32 v2, v1
.LBB7_181:
	s_cbranch_execnz .LBB7_184
.LBB7_182:
	s_waitcnt lgkmcnt(0)
	v_mul_hi_u32 v0, s29, v8
	v_add_u32_e32 v0, v8, v0
	v_lshrrev_b32_e32 v1, s30, v0
	v_mul_lo_u32 v0, v1, s28
	v_sub_u32_e32 v0, v8, v0
	v_mul_lo_u32 v2, v0, s25
	s_andn2_b64 vcc, exec, s[42:43]
	v_mul_lo_u32 v0, v0, s24
	s_cbranch_vccnz .LBB7_184
; %bb.183:
	v_mul_hi_u32 v3, s40, v1
	v_add_u32_e32 v3, v1, v3
	v_lshrrev_b32_e32 v3, s41, v3
	v_mul_lo_u32 v3, v3, s31
	v_sub_u32_e32 v3, v1, v3
	v_mad_u64_u32 v[0:1], s[8:9], v3, s26, v[0:1]
	v_mad_u64_u32 v[2:3], s[8:9], v3, s27, v[2:3]
.LBB7_184:
	s_waitcnt lgkmcnt(0)
	global_load_dwordx2 v[2:3], v2, s[2:3]
	v_mov_b32_e32 v4, 0
	v_mov_b32_e32 v5, 0x7ff00000
	s_waitcnt vmcnt(0)
	v_cmp_neq_f64_e32 vcc, 0, v[2:3]
	s_and_saveexec_b64 s[8:9], vcc
	s_cbranch_execz .LBB7_196
; %bb.185:
	v_mov_b32_e32 v4, 0
	v_cmp_ngt_f64_e32 vcc, 0, v[2:3]
	v_mov_b32_e32 v5, 0x7ff80000
	s_and_saveexec_b64 s[10:11], vcc
	s_cbranch_execz .LBB7_195
; %bb.186:
	v_cmp_ge_f64_e32 vcc, 2.0, v[2:3]
                                        ; implicit-def: $vgpr4_vgpr5
	s_and_saveexec_b64 s[12:13], vcc
	s_xor_b64 s[12:13], exec, s[12:13]
	s_cbranch_execz .LBB7_192
; %bb.187:
	s_mov_b32 s14, 0
	s_mov_b32 s15, 0x40200000
	v_mul_f64 v[4:5], v[2:3], 0.5
	v_cmp_ge_f64_e32 vcc, s[14:15], v[2:3]
                                        ; implicit-def: $vgpr6_vgpr7
	s_and_saveexec_b64 s[14:15], vcc
	s_xor_b64 s[14:15], exec, s[14:15]
	s_cbranch_execz .LBB7_189
; %bb.188:
	s_mov_b32 s16, 0x2134d0ef
	v_add_f64 v[6:7], v[4:5], -2.0
	v_mov_b32_e32 v10, 0x977da589
	v_mov_b32_e32 v11, 0x3c833362
	s_mov_b32 s17, 0xbc545cb7
	v_fmac_f64_e32 v[10:11], s[16:17], v[6:7]
	v_mov_b32_e32 v12, 0x2134d0ef
	v_mov_b32_e32 v13, 0x3c545cb7
	s_mov_b32 s16, 0x721ebbb4
	v_fmac_f64_e32 v[12:13], v[6:7], v[10:11]
	s_mov_b32 s17, 0xbcb184eb
	v_add_f64 v[12:13], v[12:13], s[16:17]
	s_mov_b32 s16, 0x93f65eba
	v_fma_f64 v[10:11], v[6:7], v[12:13], -v[10:11]
	s_mov_b32 s17, 0x3cdee6d8
	v_add_f64 v[10:11], v[10:11], s[16:17]
	s_mov_b32 s16, 0xc297fbeb
	v_fma_f64 v[12:13], v[6:7], v[10:11], -v[12:13]
	;; [unrolled: 4-line block ×27, first 2 shown]
	s_mov_b32 s17, 0x3fe5a84e
	v_add_f64 v[6:7], v[6:7], s[16:17]
	s_mov_b32 s16, 0x652b82fe
	s_mov_b32 s17, 0x3ff71547
	v_mul_f64 v[12:13], v[2:3], s[16:17]
	s_mov_b32 s16, 0xfefa39ef
	v_rndne_f64_e32 v[12:13], v[12:13]
	s_mov_b32 s17, 0xbfe62e42
	v_fma_f64 v[14:15], s[16:17], v[12:13], v[2:3]
	s_mov_b32 s16, 0x3b39803f
	s_mov_b32 s17, 0xbc7abc9e
	v_fmac_f64_e32 v[14:15], s[16:17], v[12:13]
	s_mov_b32 s16, 0x6a5dcb37
	v_mov_b32_e32 v16, 0xfca7ab0c
	v_mov_b32_e32 v17, 0x3e928af3
	s_mov_b32 s17, 0x3e5ade15
	v_fmac_f64_e32 v[16:17], s[16:17], v[14:15]
	v_mov_b32_e32 v18, 0x623fde64
	v_mov_b32_e32 v19, 0x3ec71dee
	v_fmac_f64_e32 v[18:19], v[14:15], v[16:17]
	v_mov_b32_e32 v16, 0x7c89e6b0
	v_mov_b32_e32 v17, 0x3efa0199
	;; [unrolled: 3-line block ×8, first 2 shown]
	v_fmac_f64_e32 v[16:17], v[14:15], v[18:19]
	v_fma_f64 v[16:17], v[14:15], v[16:17], 1.0
	s_mov_b32 s16, 0
	v_fma_f64 v[14:15], v[14:15], v[16:17], 1.0
	v_cvt_i32_f64_e32 v1, v[12:13]
	s_mov_b32 s17, 0x40900000
	v_ldexp_f64 v[12:13], v[14:15], v1
	v_mov_b32_e32 v1, 0x7ff00000
	v_cmp_nlt_f64_e32 vcc, s[16:17], v[2:3]
	v_add_f64 v[6:7], v[6:7], -v[10:11]
	v_cndmask_b32_e32 v13, v1, v13, vcc
	v_cndmask_b32_e32 v12, 0, v12, vcc
	v_mul_f64 v[6:7], v[6:7], 0.5
	v_mul_f64 v[6:7], v[12:13], v[6:7]
.LBB7_189:
	s_andn2_saveexec_b64 s[14:15], s[14:15]
	s_cbranch_execz .LBB7_191
; %bb.190:
	s_mov_b32 s16, 0
	s_mov_b32 s17, 0x40400000
	v_div_scale_f64 v[6:7], s[18:19], v[2:3], v[2:3], s[16:17]
	v_rcp_f64_e32 v[10:11], v[6:7]
	v_mov_b32_e32 v16, 0xfca7ab0c
	v_mov_b32_e32 v17, 0x3e928af3
	;; [unrolled: 1-line block ×3, first 2 shown]
	v_fma_f64 v[12:13], -v[6:7], v[10:11], 1.0
	v_fmac_f64_e32 v[10:11], v[10:11], v[12:13]
	v_fma_f64 v[12:13], -v[6:7], v[10:11], 1.0
	v_fmac_f64_e32 v[10:11], v[10:11], v[12:13]
	v_div_scale_f64 v[12:13], vcc, s[16:17], v[2:3], s[16:17]
	v_mul_f64 v[14:15], v[12:13], v[10:11]
	v_fma_f64 v[6:7], -v[6:7], v[14:15], v[12:13]
	v_mov_b32_e32 v12, 0x54ca8b19
	s_nop 0
	v_div_fmas_f64 v[6:7], v[6:7], v[10:11], v[14:15]
	v_div_fixup_f64 v[6:7], v[6:7], v[2:3], s[16:17]
	s_mov_b32 s16, 0x54ca8b19
	v_add_f64 v[6:7], v[6:7], -2.0
	v_mov_b32_e32 v10, 0x66119130
	v_mov_b32_e32 v11, 0xbc5646da
	s_mov_b32 s17, 0xbc60adb7
	v_fmac_f64_e32 v[10:11], s[16:17], v[6:7]
	v_mov_b32_e32 v13, 0x3c60adb7
	s_mov_b32 s16, 0x12d98421
	v_fmac_f64_e32 v[12:13], v[6:7], v[10:11]
	s_mov_b32 s17, 0x3c89be18
	v_add_f64 v[12:13], v[12:13], s[16:17]
	s_mov_b32 s16, 0x76041cd
	v_fma_f64 v[10:11], v[6:7], v[12:13], -v[10:11]
	s_mov_b32 s17, 0x3c83f3dd
	v_add_f64 v[10:11], v[10:11], s[16:17]
	s_mov_b32 s16, 0xabd21fe4
	v_fma_f64 v[12:13], v[6:7], v[10:11], -v[12:13]
	;; [unrolled: 4-line block ×22, first 2 shown]
	s_mov_b32 s17, 0x3fe9be62
	v_add_f64 v[6:7], v[6:7], s[16:17]
	s_mov_b32 s16, 0x652b82fe
	s_mov_b32 s17, 0x3ff71547
	v_mul_f64 v[10:11], v[2:3], s[16:17]
	s_mov_b32 s16, 0xfefa39ef
	v_rndne_f64_e32 v[10:11], v[10:11]
	s_mov_b32 s17, 0xbfe62e42
	v_fma_f64 v[14:15], s[16:17], v[10:11], v[2:3]
	s_mov_b32 s16, 0x3b39803f
	s_mov_b32 s17, 0xbc7abc9e
	v_fmac_f64_e32 v[14:15], s[16:17], v[10:11]
	s_mov_b32 s16, 0x6a5dcb37
	s_mov_b32 s17, 0x3e5ade15
	v_fmac_f64_e32 v[16:17], s[16:17], v[14:15]
	v_mov_b32_e32 v19, 0x3ec71dee
	v_fmac_f64_e32 v[18:19], v[14:15], v[16:17]
	v_mov_b32_e32 v16, 0x7c89e6b0
	v_mov_b32_e32 v17, 0x3efa0199
	v_fmac_f64_e32 v[16:17], v[14:15], v[18:19]
	v_mov_b32_e32 v18, 0x14761f6e
	;; [unrolled: 3-line block ×7, first 2 shown]
	v_mov_b32_e32 v17, 0x3fe00000
	v_fmac_f64_e32 v[16:17], v[14:15], v[18:19]
	s_mov_b32 s16, 0
	v_fma_f64 v[16:17], v[14:15], v[16:17], 1.0
	s_mov_b32 s17, 0x40900000
	v_fma_f64 v[14:15], v[14:15], v[16:17], 1.0
	v_cvt_i32_f64_e32 v1, v[10:11]
	v_cmp_nlt_f64_e32 vcc, s[16:17], v[2:3]
	s_mov_b32 s16, 0
	v_ldexp_f64 v[10:11], v[14:15], v1
	v_mov_b32_e32 v1, 0x7ff00000
	s_brev_b32 s17, 8
	v_cndmask_b32_e32 v11, v1, v11, vcc
	v_cndmask_b32_e32 v10, 0, v10, vcc
	v_cmp_gt_f64_e32 vcc, s[16:17], v[2:3]
	v_cndmask_b32_e64 v1, 0, 1, vcc
	v_lshlrev_b32_e32 v1, 8, v1
	v_ldexp_f64 v[14:15], v[2:3], v1
	v_rsq_f64_e32 v[16:17], v[14:15]
	v_add_f64 v[6:7], v[6:7], -v[12:13]
	v_mul_f64 v[6:7], v[6:7], 0.5
	v_mul_f64 v[6:7], v[10:11], v[6:7]
	v_mul_f64 v[10:11], v[14:15], v[16:17]
	v_mul_f64 v[12:13], v[16:17], 0.5
	v_fma_f64 v[16:17], -v[12:13], v[10:11], 0.5
	v_fmac_f64_e32 v[10:11], v[10:11], v[16:17]
	v_fma_f64 v[18:19], -v[10:11], v[10:11], v[14:15]
	v_fmac_f64_e32 v[12:13], v[12:13], v[16:17]
	v_fmac_f64_e32 v[10:11], v[18:19], v[12:13]
	v_fma_f64 v[16:17], -v[10:11], v[10:11], v[14:15]
	v_mov_b32_e32 v1, 0xffffff80
	v_fmac_f64_e32 v[10:11], v[16:17], v[12:13]
	v_cndmask_b32_e32 v1, 0, v1, vcc
	v_ldexp_f64 v[10:11], v[10:11], v1
	v_mov_b32_e32 v1, 0x260
	v_cmp_class_f64_e32 vcc, v[14:15], v1
	v_cndmask_b32_e32 v11, v11, v15, vcc
	v_cndmask_b32_e32 v10, v10, v14, vcc
	v_div_scale_f64 v[12:13], s[16:17], v[10:11], v[10:11], v[6:7]
	v_rcp_f64_e32 v[14:15], v[12:13]
	v_fma_f64 v[16:17], -v[12:13], v[14:15], 1.0
	v_fmac_f64_e32 v[14:15], v[14:15], v[16:17]
	v_fma_f64 v[16:17], -v[12:13], v[14:15], 1.0
	v_fmac_f64_e32 v[14:15], v[14:15], v[16:17]
	v_div_scale_f64 v[16:17], vcc, v[6:7], v[10:11], v[6:7]
	v_mul_f64 v[18:19], v[16:17], v[14:15]
	v_fma_f64 v[12:13], -v[12:13], v[18:19], v[16:17]
	s_nop 1
	v_div_fmas_f64 v[12:13], v[12:13], v[14:15], v[18:19]
	v_div_fixup_f64 v[6:7], v[12:13], v[10:11], v[6:7]
.LBB7_191:
	s_or_b64 exec, exec, s[14:15]
	s_mov_b32 s14, 0xe6a7fd77
	v_fma_f64 v[2:3], v[2:3], v[2:3], -2.0
	v_mov_b32_e32 v10, 0xc384c2aa
	v_mov_b32_e32 v11, 0x3d27fb0a
	s_mov_b32 s15, 0x3ca3cee1
	v_fmac_f64_e32 v[10:11], s[14:15], v[2:3]
	v_mov_b32_e32 v12, 0xe6a7fd77
	v_mov_b32_e32 v13, 0xbca3cee1
	s_mov_b32 s14, 0x47512144
	v_fmac_f64_e32 v[12:13], v[2:3], v[10:11]
	s_mov_b32 s15, 0x3da6c25c
	v_add_f64 v[12:13], v[12:13], s[14:15]
	s_mov_b32 s14, 0x67e58a13
	v_fma_f64 v[10:11], v[2:3], v[12:13], -v[10:11]
	s_mov_b32 s15, 0x3e205c13
	v_add_f64 v[10:11], v[10:11], s[14:15]
	s_mov_b32 s14, 0xe7f95efc
	v_fma_f64 v[12:13], v[2:3], v[10:11], -v[12:13]
	;; [unrolled: 4-line block ×7, first 2 shown]
	s_mov_b32 s15, 0xbfe12166
	v_add_f64 v[2:3], v[2:3], s[14:15]
	s_mov_b32 s14, 0x55555555
	v_add_f64 v[2:3], v[2:3], -v[10:11]
	v_frexp_mant_f64_e32 v[10:11], v[4:5]
	s_mov_b32 s15, 0x3fe55555
	v_mov_b32_e32 v9, 0x3ff00000
	v_cmp_gt_f64_e32 vcc, s[14:15], v[10:11]
	v_cndmask_b32_e64 v13, v9, 2.0, vcc
	v_mov_b32_e32 v12, 0
	v_mul_f64 v[10:11], v[10:11], v[12:13]
	v_add_f64 v[12:13], v[10:11], 1.0
	v_rcp_f64_e32 v[14:15], v[12:13]
	v_add_f64 v[18:19], v[12:13], -1.0
	v_add_f64 v[16:17], v[10:11], -1.0
	v_add_f64 v[10:11], v[10:11], -v[18:19]
	v_fma_f64 v[18:19], -v[12:13], v[14:15], 1.0
	v_fmac_f64_e32 v[14:15], v[18:19], v[14:15]
	v_fma_f64 v[18:19], -v[12:13], v[14:15], 1.0
	v_fmac_f64_e32 v[14:15], v[18:19], v[14:15]
	v_mul_f64 v[18:19], v[16:17], v[14:15]
	v_mul_f64 v[20:21], v[12:13], v[18:19]
	v_fma_f64 v[12:13], v[18:19], v[12:13], -v[20:21]
	v_fmac_f64_e32 v[12:13], v[18:19], v[10:11]
	v_add_f64 v[10:11], v[20:21], v[12:13]
	v_add_f64 v[22:23], v[16:17], -v[10:11]
	v_add_f64 v[20:21], v[10:11], -v[20:21]
	;; [unrolled: 1-line block ×5, first 2 shown]
	v_add_f64 v[10:11], v[12:13], v[10:11]
	v_add_f64 v[10:11], v[22:23], v[10:11]
	v_mul_f64 v[10:11], v[14:15], v[10:11]
	v_add_f64 v[12:13], v[18:19], v[10:11]
	v_add_f64 v[14:15], v[12:13], -v[18:19]
	s_mov_b32 s14, 0xbf559e2b
	v_add_f64 v[10:11], v[10:11], -v[14:15]
	v_mul_f64 v[14:15], v[12:13], v[12:13]
	v_mov_b32_e32 v16, 0x6b47b09a
	v_mov_b32_e32 v17, 0x3fc38538
	s_mov_b32 s15, 0x3fc3ab76
	v_fmac_f64_e32 v[16:17], s[14:15], v[14:15]
	v_mov_b32_e32 v18, 0xd7f4df2e
	v_mov_b32_e32 v19, 0x3fc7474d
	v_fmac_f64_e32 v[18:19], v[14:15], v[16:17]
	v_mov_b32_e32 v16, 0x16291751
	v_mov_b32_e32 v17, 0x3fcc71c0
	;; [unrolled: 3-line block ×5, first 2 shown]
	v_fmac_f64_e32 v[18:19], v[14:15], v[16:17]
	v_ldexp_f64 v[16:17], v[12:13], 1
	v_mul_f64 v[12:13], v[12:13], v[14:15]
	v_mul_f64 v[12:13], v[12:13], v[18:19]
	v_add_f64 v[14:15], v[16:17], v[12:13]
	v_add_f64 v[16:17], v[14:15], -v[16:17]
	v_ldexp_f64 v[10:11], v[10:11], 1
	v_add_f64 v[12:13], v[12:13], -v[16:17]
	v_add_f64 v[10:11], v[10:11], v[12:13]
	v_frexp_exp_i32_f64_e32 v1, v[4:5]
	v_add_f64 v[12:13], v[14:15], v[10:11]
	v_subbrev_co_u32_e32 v1, vcc, 0, v1, vcc
	v_add_f64 v[14:15], v[12:13], -v[14:15]
	s_mov_b32 s14, 0xfefa39ef
	v_add_f64 v[10:11], v[10:11], -v[14:15]
	v_cvt_f64_i32_e32 v[14:15], v1
	s_mov_b32 s15, 0x3fe62e42
	v_mul_f64 v[16:17], v[14:15], s[14:15]
	v_fma_f64 v[18:19], v[14:15], s[14:15], -v[16:17]
	s_mov_b32 s14, 0x3b39803f
	s_mov_b32 s15, 0x3c7abc9e
	v_fmac_f64_e32 v[18:19], s[14:15], v[14:15]
	v_add_f64 v[14:15], v[16:17], v[18:19]
	v_add_f64 v[16:17], v[14:15], -v[16:17]
	v_add_f64 v[16:17], v[18:19], -v[16:17]
	v_add_f64 v[18:19], v[14:15], v[12:13]
	v_add_f64 v[20:21], v[18:19], -v[14:15]
	v_add_f64 v[22:23], v[18:19], -v[20:21]
	;; [unrolled: 1-line block ×4, first 2 shown]
	v_add_f64 v[12:13], v[12:13], v[14:15]
	v_add_f64 v[14:15], v[16:17], v[10:11]
	v_add_f64 v[20:21], v[14:15], -v[16:17]
	v_add_f64 v[22:23], v[14:15], -v[20:21]
	v_add_f64 v[12:13], v[14:15], v[12:13]
	v_add_f64 v[16:17], v[16:17], -v[22:23]
	v_add_f64 v[10:11], v[10:11], -v[20:21]
	v_add_f64 v[14:15], v[18:19], v[12:13]
	v_add_f64 v[10:11], v[10:11], v[16:17]
	v_add_f64 v[16:17], v[14:15], -v[18:19]
	v_add_f64 v[12:13], v[12:13], -v[16:17]
	s_mov_b32 s14, 0
	v_add_f64 v[10:11], v[10:11], v[12:13]
	s_mov_b32 s15, 0x7ff00000
	v_add_f64 v[10:11], v[14:15], v[10:11]
	v_cmp_eq_f64_e32 vcc, s[14:15], v[4:5]
	v_cndmask_b32_e32 v1, v10, v4, vcc
	v_cndmask_b32_e32 v9, v11, v5, vcc
	v_mov_b32_e32 v10, 0xfff00000
	v_cmp_neq_f64_e32 vcc, 0, v[4:5]
	v_cndmask_b32_e32 v5, v10, v9, vcc
	v_cndmask_b32_e32 v4, 0, v1, vcc
	v_mul_f64 v[4:5], v[4:5], v[6:7]
	v_fma_f64 v[4:5], v[2:3], 0.5, -v[4:5]
                                        ; implicit-def: $vgpr2_vgpr3
.LBB7_192:
	s_andn2_saveexec_b64 s[12:13], s[12:13]
	s_cbranch_execz .LBB7_194
; %bb.193:
	s_mov_b32 s14, 0
	s_mov_b32 s15, 0x40200000
	v_div_scale_f64 v[4:5], s[16:17], v[2:3], v[2:3], s[14:15]
	v_rcp_f64_e32 v[6:7], v[4:5]
	v_mov_b32_e32 v14, 0xfca7ab0c
	v_mov_b32_e32 v15, 0x3e928af3
	;; [unrolled: 1-line block ×3, first 2 shown]
	v_fma_f64 v[10:11], -v[4:5], v[6:7], 1.0
	v_fmac_f64_e32 v[6:7], v[6:7], v[10:11]
	v_fma_f64 v[10:11], -v[4:5], v[6:7], 1.0
	v_fmac_f64_e32 v[6:7], v[6:7], v[10:11]
	v_div_scale_f64 v[10:11], vcc, s[14:15], v[2:3], s[14:15]
	v_mul_f64 v[12:13], v[10:11], v[6:7]
	v_fma_f64 v[4:5], -v[4:5], v[12:13], v[10:11]
	v_mov_b32_e32 v10, 0xcf8c9ee1
	s_nop 0
	v_div_fmas_f64 v[4:5], v[4:5], v[6:7], v[12:13]
	v_div_fixup_f64 v[4:5], v[4:5], v[2:3], s[14:15]
	s_mov_b32 s14, 0xcf8c9ee1
	v_add_f64 v[4:5], v[4:5], -2.0
	v_mov_b32_e32 v6, 0x93812603
	v_mov_b32_e32 v7, 0xbc72fecc
	s_mov_b32 s15, 0x3c5871a5
	v_fmac_f64_e32 v[6:7], s[14:15], v[4:5]
	v_mov_b32_e32 v11, 0xbc5871a5
	s_mov_b32 s14, 0x41a8cdf4
	v_fmac_f64_e32 v[10:11], v[4:5], v[6:7]
	s_mov_b32 s15, 0x3c8e092e
	v_add_f64 v[10:11], v[10:11], s[14:15]
	s_mov_b32 s14, 0x74d77641
	v_fma_f64 v[6:7], v[4:5], v[10:11], -v[6:7]
	s_mov_b32 s15, 0xbca82f94
	v_add_f64 v[6:7], v[6:7], s[14:15]
	s_mov_b32 s14, 0x6b94785b
	v_fma_f64 v[10:11], v[4:5], v[6:7], -v[10:11]
	;; [unrolled: 4-line block ×22, first 2 shown]
	s_mov_b32 s15, 0x400385bd
	v_add_f64 v[4:5], v[4:5], s[14:15]
	s_mov_b32 s14, 0x652b82fe
	s_mov_b32 s15, 0xbff71547
	v_mul_f64 v[6:7], v[2:3], s[14:15]
	s_mov_b32 s14, 0xfefa39ef
	v_rndne_f64_e32 v[6:7], v[6:7]
	s_mov_b32 s15, 0xbfe62e42
	v_fma_f64 v[12:13], v[6:7], s[14:15], -v[2:3]
	s_mov_b32 s14, 0x3b39803f
	s_mov_b32 s15, 0xbc7abc9e
	v_fmac_f64_e32 v[12:13], s[14:15], v[6:7]
	s_mov_b32 s14, 0x6a5dcb37
	s_mov_b32 s15, 0x3e5ade15
	v_fmac_f64_e32 v[14:15], s[14:15], v[12:13]
	v_mov_b32_e32 v17, 0x3ec71dee
	v_fmac_f64_e32 v[16:17], v[12:13], v[14:15]
	v_mov_b32_e32 v14, 0x7c89e6b0
	v_mov_b32_e32 v15, 0x3efa0199
	v_fmac_f64_e32 v[14:15], v[12:13], v[16:17]
	v_mov_b32_e32 v16, 0x14761f6e
	;; [unrolled: 3-line block ×7, first 2 shown]
	v_mov_b32_e32 v15, 0x3fe00000
	v_fmac_f64_e32 v[14:15], v[12:13], v[16:17]
	s_mov_b32 s14, 0
	v_fma_f64 v[14:15], v[12:13], v[14:15], 1.0
	s_mov_b32 s15, 0x4090cc00
	v_fma_f64 v[12:13], v[12:13], v[14:15], 1.0
	v_cvt_i32_f64_e32 v1, v[6:7]
	v_cmp_nlt_f64_e32 vcc, s[14:15], v[2:3]
	s_mov_b32 s14, 0
	v_ldexp_f64 v[6:7], v[12:13], v1
	s_brev_b32 s15, 8
	v_cndmask_b32_e32 v7, 0, v7, vcc
	v_cndmask_b32_e32 v6, 0, v6, vcc
	v_cmp_gt_f64_e32 vcc, s[14:15], v[2:3]
	v_cndmask_b32_e64 v1, 0, 1, vcc
	v_lshlrev_b32_e32 v1, 8, v1
	v_ldexp_f64 v[2:3], v[2:3], v1
	v_rsq_f64_e32 v[12:13], v[2:3]
	v_add_f64 v[4:5], v[4:5], -v[10:11]
	v_mul_f64 v[4:5], v[4:5], 0.5
	v_mul_f64 v[4:5], v[6:7], v[4:5]
	v_mul_f64 v[6:7], v[2:3], v[12:13]
	v_mul_f64 v[10:11], v[12:13], 0.5
	v_fma_f64 v[12:13], -v[10:11], v[6:7], 0.5
	v_fmac_f64_e32 v[6:7], v[6:7], v[12:13]
	v_fma_f64 v[14:15], -v[6:7], v[6:7], v[2:3]
	v_fmac_f64_e32 v[10:11], v[10:11], v[12:13]
	v_fmac_f64_e32 v[6:7], v[14:15], v[10:11]
	v_fma_f64 v[12:13], -v[6:7], v[6:7], v[2:3]
	v_mov_b32_e32 v1, 0xffffff80
	v_fmac_f64_e32 v[6:7], v[12:13], v[10:11]
	v_cndmask_b32_e32 v1, 0, v1, vcc
	v_ldexp_f64 v[6:7], v[6:7], v1
	v_mov_b32_e32 v1, 0x260
	v_cmp_class_f64_e32 vcc, v[2:3], v1
	v_cndmask_b32_e32 v3, v7, v3, vcc
	v_cndmask_b32_e32 v2, v6, v2, vcc
	v_div_scale_f64 v[6:7], s[14:15], v[2:3], v[2:3], v[4:5]
	v_rcp_f64_e32 v[10:11], v[6:7]
	v_fma_f64 v[12:13], -v[6:7], v[10:11], 1.0
	v_fmac_f64_e32 v[10:11], v[10:11], v[12:13]
	v_fma_f64 v[12:13], -v[6:7], v[10:11], 1.0
	v_fmac_f64_e32 v[10:11], v[10:11], v[12:13]
	v_div_scale_f64 v[12:13], vcc, v[4:5], v[2:3], v[4:5]
	v_mul_f64 v[14:15], v[12:13], v[10:11]
	v_fma_f64 v[6:7], -v[6:7], v[14:15], v[12:13]
	s_nop 1
	v_div_fmas_f64 v[6:7], v[6:7], v[10:11], v[14:15]
	v_div_fixup_f64 v[4:5], v[6:7], v[2:3], v[4:5]
.LBB7_194:
	s_or_b64 exec, exec, s[12:13]
.LBB7_195:
	s_or_b64 exec, exec, s[10:11]
.LBB7_196:
	s_or_b64 exec, exec, s[8:9]
	v_add_u32_e32 v8, 0x80, v8
	global_store_dwordx2 v0, v[4:5], s[0:1]
	s_or_b64 exec, exec, s[48:49]
	v_cmp_gt_i32_e32 vcc, s57, v8
	s_and_saveexec_b64 s[48:49], vcc
	s_cbranch_execz .LBB7_174
.LBB7_197:
	s_andn2_b64 vcc, exec, s[6:7]
	s_cbranch_vccnz .LBB7_203
; %bb.198:
	s_mov_b32 s50, 0
	s_andn2_b64 vcc, exec, s[46:47]
	v_mov_b32_e32 v2, 0
	v_mov_b32_e32 v0, 0
	s_cbranch_vccnz .LBB7_209
; %bb.199:
	s_add_i32 s58, s58, 1
	s_cmp_eq_u32 s56, 2
	s_cbranch_scc1 .LBB7_204
; %bb.200:
	s_and_b32 s50, s58, 28
	s_mov_b32 s51, 0
	v_mov_b32_e32 v0, 0
	s_mov_b64 s[46:47], s[4:5]
	v_mov_b32_e32 v3, v8
	v_mov_b32_e32 v2, 0
.LBB7_201:                              ; =>This Inner Loop Header: Depth=1
	s_load_dwordx8 s[16:23], s[46:47], 0x4
	s_load_dwordx4 s[36:39], s[46:47], 0x24
	s_load_dwordx8 s[8:15], s[44:45], 0x0
	s_add_u32 s46, s46, 48
	s_addc_u32 s47, s47, 0
	s_waitcnt lgkmcnt(0)
	v_mul_hi_u32 v1, s17, v3
	v_add_u32_e32 v1, v3, v1
	v_lshrrev_b32_e32 v1, s18, v1
	v_mul_lo_u32 v4, v1, s16
	v_mul_hi_u32 v5, s20, v1
	v_sub_u32_e32 v3, v3, v4
	v_add_u32_e32 v4, v1, v5
	v_lshrrev_b32_e32 v4, s21, v4
	v_mul_lo_u32 v6, v4, s19
	v_mul_hi_u32 v7, s23, v4
	v_sub_u32_e32 v1, v1, v6
	v_add_u32_e32 v6, v4, v7
	v_mul_lo_u32 v5, v3, s9
	v_mul_lo_u32 v3, v3, s8
	;; [unrolled: 1-line block ×4, first 2 shown]
	v_lshrrev_b32_e32 v6, s36, v6
	v_add3_u32 v0, v3, v0, v1
	v_mul_hi_u32 v3, s38, v6
	v_add_u32_e32 v3, v6, v3
	v_lshrrev_b32_e32 v3, s39, v3
	s_add_i32 s51, s51, 4
	v_add3_u32 v1, v5, v2, v7
	v_mul_lo_u32 v2, v6, s22
	v_mul_lo_u32 v5, v3, s37
	s_add_u32 s44, s44, 32
	v_sub_u32_e32 v2, v4, v2
	v_sub_u32_e32 v5, v6, v5
	s_addc_u32 s45, s45, 0
	v_mul_lo_u32 v4, v2, s12
	v_mul_lo_u32 v2, v2, s13
	;; [unrolled: 1-line block ×4, first 2 shown]
	s_cmp_eq_u32 s50, s51
	v_add3_u32 v2, v2, v1, v5
	v_add3_u32 v0, v4, v0, v6
	s_cbranch_scc0 .LBB7_201
; %bb.202:
	v_mov_b32_e32 v1, v2
	s_branch .LBB7_205
.LBB7_203:
                                        ; implicit-def: $vgpr2
                                        ; implicit-def: $vgpr0
	s_branch .LBB7_210
.LBB7_204:
	s_mov_b32 s51, s50
	v_pk_mov_b32 v[0:1], s[50:51], s[50:51] op_sel:[0,1]
                                        ; implicit-def: $vgpr2
	v_mov_b32_e32 v3, v8
.LBB7_205:
	s_and_b32 s12, s58, 3
	s_cmp_eq_u32 s12, 0
	s_cbranch_scc1 .LBB7_209
; %bb.206:
	s_lshl_b32 s8, s50, 3
	s_add_u32 s8, s8, s4
	s_addc_u32 s9, s5, 0
	s_add_u32 s8, s8, 0xc4
	s_addc_u32 s9, s9, 0
	s_mul_i32 s10, s50, 12
	s_add_u32 s10, s4, s10
	s_addc_u32 s11, s5, 0
.LBB7_207:                              ; =>This Inner Loop Header: Depth=1
	s_load_dwordx2 s[14:15], s[10:11], 0x4
	s_load_dword s13, s[10:11], 0xc
	s_load_dwordx2 s[16:17], s[8:9], 0x0
	v_mov_b32_e32 v2, v1
	s_add_u32 s10, s10, 12
	s_waitcnt lgkmcnt(0)
	v_mul_hi_u32 v1, s15, v3
	v_add_u32_e32 v1, v3, v1
	v_lshrrev_b32_e32 v1, s13, v1
	s_addc_u32 s11, s11, 0
	v_mul_lo_u32 v4, v1, s14
	s_add_u32 s8, s8, 8
	v_sub_u32_e32 v6, v3, v4
	v_mov_b32_e32 v3, v1
	s_addc_u32 s9, s9, 0
	s_add_i32 s12, s12, -1
	v_mad_u64_u32 v[4:5], s[14:15], v6, s17, v[2:3]
	v_mad_u64_u32 v[0:1], s[14:15], v6, s16, v[0:1]
	s_cmp_lg_u32 s12, 0
	v_mov_b32_e32 v1, v4
	s_cbranch_scc1 .LBB7_207
; %bb.208:
	v_mov_b32_e32 v2, v1
.LBB7_209:
	s_cbranch_execnz .LBB7_212
.LBB7_210:
	s_waitcnt lgkmcnt(0)
	v_mul_hi_u32 v0, s29, v8
	v_add_u32_e32 v0, v8, v0
	v_lshrrev_b32_e32 v1, s30, v0
	v_mul_lo_u32 v0, v1, s28
	v_sub_u32_e32 v0, v8, v0
	v_mul_lo_u32 v2, v0, s25
	s_andn2_b64 vcc, exec, s[42:43]
	v_mul_lo_u32 v0, v0, s24
	s_cbranch_vccnz .LBB7_212
; %bb.211:
	v_mul_hi_u32 v3, s40, v1
	v_add_u32_e32 v3, v1, v3
	v_lshrrev_b32_e32 v3, s41, v3
	v_mul_lo_u32 v3, v3, s31
	v_sub_u32_e32 v3, v1, v3
	v_mad_u64_u32 v[0:1], s[8:9], v3, s26, v[0:1]
	v_mad_u64_u32 v[2:3], s[8:9], v3, s27, v[2:3]
.LBB7_212:
	s_waitcnt lgkmcnt(0)
	global_load_dwordx2 v[2:3], v2, s[2:3]
	v_mov_b32_e32 v4, 0
	v_mov_b32_e32 v5, 0x7ff00000
	s_waitcnt vmcnt(0)
	v_cmp_neq_f64_e32 vcc, 0, v[2:3]
	s_and_saveexec_b64 s[2:3], vcc
	s_cbranch_execz .LBB7_224
; %bb.213:
	v_mov_b32_e32 v4, 0
	v_cmp_ngt_f64_e32 vcc, 0, v[2:3]
	v_mov_b32_e32 v5, 0x7ff80000
	s_and_saveexec_b64 s[8:9], vcc
	s_cbranch_execz .LBB7_223
; %bb.214:
	v_cmp_ge_f64_e32 vcc, 2.0, v[2:3]
                                        ; implicit-def: $vgpr4_vgpr5
	s_and_saveexec_b64 s[10:11], vcc
	s_xor_b64 s[10:11], exec, s[10:11]
	s_cbranch_execz .LBB7_220
; %bb.215:
	s_mov_b32 s12, 0
	s_mov_b32 s13, 0x40200000
	v_mul_f64 v[4:5], v[2:3], 0.5
	v_cmp_ge_f64_e32 vcc, s[12:13], v[2:3]
                                        ; implicit-def: $vgpr6_vgpr7
	s_and_saveexec_b64 s[12:13], vcc
	s_xor_b64 s[12:13], exec, s[12:13]
	s_cbranch_execz .LBB7_217
; %bb.216:
	s_mov_b32 s14, 0x2134d0ef
	v_add_f64 v[6:7], v[4:5], -2.0
	v_mov_b32_e32 v8, 0x977da589
	v_mov_b32_e32 v9, 0x3c833362
	s_mov_b32 s15, 0xbc545cb7
	v_fmac_f64_e32 v[8:9], s[14:15], v[6:7]
	v_mov_b32_e32 v10, 0x2134d0ef
	v_mov_b32_e32 v11, 0x3c545cb7
	s_mov_b32 s14, 0x721ebbb4
	v_fmac_f64_e32 v[10:11], v[6:7], v[8:9]
	s_mov_b32 s15, 0xbcb184eb
	v_add_f64 v[10:11], v[10:11], s[14:15]
	s_mov_b32 s14, 0x93f65eba
	v_fma_f64 v[8:9], v[6:7], v[10:11], -v[8:9]
	s_mov_b32 s15, 0x3cdee6d8
	v_add_f64 v[8:9], v[8:9], s[14:15]
	s_mov_b32 s14, 0xc297fbeb
	v_fma_f64 v[10:11], v[6:7], v[8:9], -v[10:11]
	;; [unrolled: 4-line block ×27, first 2 shown]
	s_mov_b32 s15, 0x3fe5a84e
	v_add_f64 v[6:7], v[6:7], s[14:15]
	s_mov_b32 s14, 0x652b82fe
	s_mov_b32 s15, 0x3ff71547
	v_mul_f64 v[10:11], v[2:3], s[14:15]
	s_mov_b32 s14, 0xfefa39ef
	v_rndne_f64_e32 v[10:11], v[10:11]
	s_mov_b32 s15, 0xbfe62e42
	v_fma_f64 v[12:13], s[14:15], v[10:11], v[2:3]
	s_mov_b32 s14, 0x3b39803f
	s_mov_b32 s15, 0xbc7abc9e
	v_fmac_f64_e32 v[12:13], s[14:15], v[10:11]
	s_mov_b32 s14, 0x6a5dcb37
	v_mov_b32_e32 v14, 0xfca7ab0c
	v_mov_b32_e32 v15, 0x3e928af3
	s_mov_b32 s15, 0x3e5ade15
	v_fmac_f64_e32 v[14:15], s[14:15], v[12:13]
	v_mov_b32_e32 v16, 0x623fde64
	v_mov_b32_e32 v17, 0x3ec71dee
	v_fmac_f64_e32 v[16:17], v[12:13], v[14:15]
	v_mov_b32_e32 v14, 0x7c89e6b0
	v_mov_b32_e32 v15, 0x3efa0199
	;; [unrolled: 3-line block ×8, first 2 shown]
	v_fmac_f64_e32 v[14:15], v[12:13], v[16:17]
	v_fma_f64 v[14:15], v[12:13], v[14:15], 1.0
	s_mov_b32 s14, 0
	v_fma_f64 v[12:13], v[12:13], v[14:15], 1.0
	v_cvt_i32_f64_e32 v1, v[10:11]
	s_mov_b32 s15, 0x40900000
	v_ldexp_f64 v[10:11], v[12:13], v1
	v_mov_b32_e32 v1, 0x7ff00000
	v_cmp_nlt_f64_e32 vcc, s[14:15], v[2:3]
	v_add_f64 v[6:7], v[6:7], -v[8:9]
	v_cndmask_b32_e32 v11, v1, v11, vcc
	v_cndmask_b32_e32 v10, 0, v10, vcc
	v_mul_f64 v[6:7], v[6:7], 0.5
	v_mul_f64 v[6:7], v[10:11], v[6:7]
.LBB7_217:
	s_andn2_saveexec_b64 s[12:13], s[12:13]
	s_cbranch_execz .LBB7_219
; %bb.218:
	s_mov_b32 s14, 0
	s_mov_b32 s15, 0x40400000
	v_div_scale_f64 v[6:7], s[16:17], v[2:3], v[2:3], s[14:15]
	v_rcp_f64_e32 v[8:9], v[6:7]
	v_mov_b32_e32 v14, 0xfca7ab0c
	v_mov_b32_e32 v15, 0x3e928af3
	;; [unrolled: 1-line block ×3, first 2 shown]
	v_fma_f64 v[10:11], -v[6:7], v[8:9], 1.0
	v_fmac_f64_e32 v[8:9], v[8:9], v[10:11]
	v_fma_f64 v[10:11], -v[6:7], v[8:9], 1.0
	v_fmac_f64_e32 v[8:9], v[8:9], v[10:11]
	v_div_scale_f64 v[10:11], vcc, s[14:15], v[2:3], s[14:15]
	v_mul_f64 v[12:13], v[10:11], v[8:9]
	v_fma_f64 v[6:7], -v[6:7], v[12:13], v[10:11]
	v_mov_b32_e32 v10, 0x54ca8b19
	s_nop 0
	v_div_fmas_f64 v[6:7], v[6:7], v[8:9], v[12:13]
	v_div_fixup_f64 v[6:7], v[6:7], v[2:3], s[14:15]
	s_mov_b32 s14, 0x54ca8b19
	v_add_f64 v[6:7], v[6:7], -2.0
	v_mov_b32_e32 v8, 0x66119130
	v_mov_b32_e32 v9, 0xbc5646da
	s_mov_b32 s15, 0xbc60adb7
	v_fmac_f64_e32 v[8:9], s[14:15], v[6:7]
	v_mov_b32_e32 v11, 0x3c60adb7
	s_mov_b32 s14, 0x12d98421
	v_fmac_f64_e32 v[10:11], v[6:7], v[8:9]
	s_mov_b32 s15, 0x3c89be18
	v_add_f64 v[10:11], v[10:11], s[14:15]
	s_mov_b32 s14, 0x76041cd
	v_fma_f64 v[8:9], v[6:7], v[10:11], -v[8:9]
	s_mov_b32 s15, 0x3c83f3dd
	v_add_f64 v[8:9], v[8:9], s[14:15]
	s_mov_b32 s14, 0xabd21fe4
	v_fma_f64 v[10:11], v[6:7], v[8:9], -v[10:11]
	;; [unrolled: 4-line block ×22, first 2 shown]
	s_mov_b32 s15, 0x3fe9be62
	v_add_f64 v[6:7], v[6:7], s[14:15]
	s_mov_b32 s14, 0x652b82fe
	s_mov_b32 s15, 0x3ff71547
	v_mul_f64 v[8:9], v[2:3], s[14:15]
	s_mov_b32 s14, 0xfefa39ef
	v_rndne_f64_e32 v[8:9], v[8:9]
	s_mov_b32 s15, 0xbfe62e42
	v_fma_f64 v[12:13], s[14:15], v[8:9], v[2:3]
	s_mov_b32 s14, 0x3b39803f
	s_mov_b32 s15, 0xbc7abc9e
	v_fmac_f64_e32 v[12:13], s[14:15], v[8:9]
	s_mov_b32 s14, 0x6a5dcb37
	s_mov_b32 s15, 0x3e5ade15
	v_fmac_f64_e32 v[14:15], s[14:15], v[12:13]
	v_mov_b32_e32 v17, 0x3ec71dee
	v_fmac_f64_e32 v[16:17], v[12:13], v[14:15]
	v_mov_b32_e32 v14, 0x7c89e6b0
	v_mov_b32_e32 v15, 0x3efa0199
	v_fmac_f64_e32 v[14:15], v[12:13], v[16:17]
	v_mov_b32_e32 v16, 0x14761f6e
	;; [unrolled: 3-line block ×7, first 2 shown]
	v_mov_b32_e32 v15, 0x3fe00000
	v_fmac_f64_e32 v[14:15], v[12:13], v[16:17]
	s_mov_b32 s14, 0
	v_fma_f64 v[14:15], v[12:13], v[14:15], 1.0
	s_mov_b32 s15, 0x40900000
	v_fma_f64 v[12:13], v[12:13], v[14:15], 1.0
	v_cvt_i32_f64_e32 v1, v[8:9]
	v_cmp_nlt_f64_e32 vcc, s[14:15], v[2:3]
	s_mov_b32 s14, 0
	v_ldexp_f64 v[8:9], v[12:13], v1
	v_mov_b32_e32 v1, 0x7ff00000
	s_brev_b32 s15, 8
	v_cndmask_b32_e32 v9, v1, v9, vcc
	v_cndmask_b32_e32 v8, 0, v8, vcc
	v_cmp_gt_f64_e32 vcc, s[14:15], v[2:3]
	v_cndmask_b32_e64 v1, 0, 1, vcc
	v_lshlrev_b32_e32 v1, 8, v1
	v_ldexp_f64 v[12:13], v[2:3], v1
	v_rsq_f64_e32 v[14:15], v[12:13]
	v_add_f64 v[6:7], v[6:7], -v[10:11]
	v_mul_f64 v[6:7], v[6:7], 0.5
	v_mul_f64 v[6:7], v[8:9], v[6:7]
	v_mul_f64 v[8:9], v[12:13], v[14:15]
	v_mul_f64 v[10:11], v[14:15], 0.5
	v_fma_f64 v[14:15], -v[10:11], v[8:9], 0.5
	v_fmac_f64_e32 v[8:9], v[8:9], v[14:15]
	v_fma_f64 v[16:17], -v[8:9], v[8:9], v[12:13]
	v_fmac_f64_e32 v[10:11], v[10:11], v[14:15]
	v_fmac_f64_e32 v[8:9], v[16:17], v[10:11]
	v_fma_f64 v[14:15], -v[8:9], v[8:9], v[12:13]
	v_mov_b32_e32 v1, 0xffffff80
	v_fmac_f64_e32 v[8:9], v[14:15], v[10:11]
	v_cndmask_b32_e32 v1, 0, v1, vcc
	v_ldexp_f64 v[8:9], v[8:9], v1
	v_mov_b32_e32 v1, 0x260
	v_cmp_class_f64_e32 vcc, v[12:13], v1
	v_cndmask_b32_e32 v9, v9, v13, vcc
	v_cndmask_b32_e32 v8, v8, v12, vcc
	v_div_scale_f64 v[10:11], s[14:15], v[8:9], v[8:9], v[6:7]
	v_rcp_f64_e32 v[12:13], v[10:11]
	v_fma_f64 v[14:15], -v[10:11], v[12:13], 1.0
	v_fmac_f64_e32 v[12:13], v[12:13], v[14:15]
	v_fma_f64 v[14:15], -v[10:11], v[12:13], 1.0
	v_fmac_f64_e32 v[12:13], v[12:13], v[14:15]
	v_div_scale_f64 v[14:15], vcc, v[6:7], v[8:9], v[6:7]
	v_mul_f64 v[16:17], v[14:15], v[12:13]
	v_fma_f64 v[10:11], -v[10:11], v[16:17], v[14:15]
	s_nop 1
	v_div_fmas_f64 v[10:11], v[10:11], v[12:13], v[16:17]
	v_div_fixup_f64 v[6:7], v[10:11], v[8:9], v[6:7]
.LBB7_219:
	s_or_b64 exec, exec, s[12:13]
	s_mov_b32 s12, 0xe6a7fd77
	v_fma_f64 v[2:3], v[2:3], v[2:3], -2.0
	v_mov_b32_e32 v8, 0xc384c2aa
	v_mov_b32_e32 v9, 0x3d27fb0a
	s_mov_b32 s13, 0x3ca3cee1
	v_fmac_f64_e32 v[8:9], s[12:13], v[2:3]
	v_mov_b32_e32 v10, 0xe6a7fd77
	v_mov_b32_e32 v11, 0xbca3cee1
	s_mov_b32 s12, 0x47512144
	v_fmac_f64_e32 v[10:11], v[2:3], v[8:9]
	s_mov_b32 s13, 0x3da6c25c
	v_add_f64 v[10:11], v[10:11], s[12:13]
	s_mov_b32 s12, 0x67e58a13
	v_fma_f64 v[8:9], v[2:3], v[10:11], -v[8:9]
	s_mov_b32 s13, 0x3e205c13
	v_add_f64 v[8:9], v[8:9], s[12:13]
	s_mov_b32 s12, 0xe7f95efc
	v_fma_f64 v[10:11], v[2:3], v[8:9], -v[10:11]
	;; [unrolled: 4-line block ×7, first 2 shown]
	s_mov_b32 s13, 0xbfe12166
	v_add_f64 v[2:3], v[2:3], s[12:13]
	s_mov_b32 s12, 0x55555555
	v_add_f64 v[2:3], v[2:3], -v[8:9]
	v_frexp_mant_f64_e32 v[8:9], v[4:5]
	s_mov_b32 s13, 0x3fe55555
	v_mov_b32_e32 v10, 0x3ff00000
	v_cmp_gt_f64_e32 vcc, s[12:13], v[8:9]
	v_cndmask_b32_e64 v11, v10, 2.0, vcc
	v_mov_b32_e32 v10, 0
	v_mul_f64 v[8:9], v[8:9], v[10:11]
	v_add_f64 v[10:11], v[8:9], 1.0
	v_rcp_f64_e32 v[12:13], v[10:11]
	v_add_f64 v[16:17], v[10:11], -1.0
	v_add_f64 v[14:15], v[8:9], -1.0
	v_add_f64 v[8:9], v[8:9], -v[16:17]
	v_fma_f64 v[16:17], -v[10:11], v[12:13], 1.0
	v_fmac_f64_e32 v[12:13], v[16:17], v[12:13]
	v_fma_f64 v[16:17], -v[10:11], v[12:13], 1.0
	v_fmac_f64_e32 v[12:13], v[16:17], v[12:13]
	v_mul_f64 v[16:17], v[14:15], v[12:13]
	v_mul_f64 v[18:19], v[10:11], v[16:17]
	v_fma_f64 v[10:11], v[16:17], v[10:11], -v[18:19]
	v_fmac_f64_e32 v[10:11], v[16:17], v[8:9]
	v_add_f64 v[8:9], v[18:19], v[10:11]
	v_add_f64 v[20:21], v[14:15], -v[8:9]
	v_add_f64 v[18:19], v[8:9], -v[18:19]
	;; [unrolled: 1-line block ×5, first 2 shown]
	v_add_f64 v[8:9], v[10:11], v[8:9]
	v_add_f64 v[8:9], v[20:21], v[8:9]
	v_mul_f64 v[8:9], v[12:13], v[8:9]
	v_add_f64 v[10:11], v[16:17], v[8:9]
	v_add_f64 v[12:13], v[10:11], -v[16:17]
	s_mov_b32 s12, 0xbf559e2b
	v_add_f64 v[8:9], v[8:9], -v[12:13]
	v_mul_f64 v[12:13], v[10:11], v[10:11]
	v_mov_b32_e32 v14, 0x6b47b09a
	v_mov_b32_e32 v15, 0x3fc38538
	s_mov_b32 s13, 0x3fc3ab76
	v_fmac_f64_e32 v[14:15], s[12:13], v[12:13]
	v_mov_b32_e32 v16, 0xd7f4df2e
	v_mov_b32_e32 v17, 0x3fc7474d
	v_fmac_f64_e32 v[16:17], v[12:13], v[14:15]
	v_mov_b32_e32 v14, 0x16291751
	v_mov_b32_e32 v15, 0x3fcc71c0
	;; [unrolled: 3-line block ×5, first 2 shown]
	v_fmac_f64_e32 v[16:17], v[12:13], v[14:15]
	v_ldexp_f64 v[14:15], v[10:11], 1
	v_mul_f64 v[10:11], v[10:11], v[12:13]
	v_mul_f64 v[10:11], v[10:11], v[16:17]
	v_add_f64 v[12:13], v[14:15], v[10:11]
	v_add_f64 v[14:15], v[12:13], -v[14:15]
	v_ldexp_f64 v[8:9], v[8:9], 1
	v_add_f64 v[10:11], v[10:11], -v[14:15]
	v_add_f64 v[8:9], v[8:9], v[10:11]
	v_frexp_exp_i32_f64_e32 v1, v[4:5]
	v_add_f64 v[10:11], v[12:13], v[8:9]
	v_subbrev_co_u32_e32 v1, vcc, 0, v1, vcc
	v_add_f64 v[12:13], v[10:11], -v[12:13]
	s_mov_b32 s12, 0xfefa39ef
	v_add_f64 v[8:9], v[8:9], -v[12:13]
	v_cvt_f64_i32_e32 v[12:13], v1
	s_mov_b32 s13, 0x3fe62e42
	v_mul_f64 v[14:15], v[12:13], s[12:13]
	v_fma_f64 v[16:17], v[12:13], s[12:13], -v[14:15]
	s_mov_b32 s12, 0x3b39803f
	s_mov_b32 s13, 0x3c7abc9e
	v_fmac_f64_e32 v[16:17], s[12:13], v[12:13]
	v_add_f64 v[12:13], v[14:15], v[16:17]
	v_add_f64 v[14:15], v[12:13], -v[14:15]
	v_add_f64 v[14:15], v[16:17], -v[14:15]
	v_add_f64 v[16:17], v[12:13], v[10:11]
	v_add_f64 v[18:19], v[16:17], -v[12:13]
	v_add_f64 v[20:21], v[16:17], -v[18:19]
	v_add_f64 v[12:13], v[12:13], -v[20:21]
	v_add_f64 v[10:11], v[10:11], -v[18:19]
	v_add_f64 v[10:11], v[10:11], v[12:13]
	v_add_f64 v[12:13], v[14:15], v[8:9]
	v_add_f64 v[18:19], v[12:13], -v[14:15]
	v_add_f64 v[20:21], v[12:13], -v[18:19]
	v_add_f64 v[10:11], v[12:13], v[10:11]
	v_add_f64 v[14:15], v[14:15], -v[20:21]
	v_add_f64 v[8:9], v[8:9], -v[18:19]
	v_add_f64 v[12:13], v[16:17], v[10:11]
	v_add_f64 v[8:9], v[8:9], v[14:15]
	v_add_f64 v[14:15], v[12:13], -v[16:17]
	v_add_f64 v[10:11], v[10:11], -v[14:15]
	s_mov_b32 s12, 0
	v_add_f64 v[8:9], v[8:9], v[10:11]
	s_mov_b32 s13, 0x7ff00000
	v_add_f64 v[8:9], v[12:13], v[8:9]
	v_cmp_eq_f64_e32 vcc, s[12:13], v[4:5]
	v_cndmask_b32_e32 v1, v8, v4, vcc
	v_cndmask_b32_e32 v8, v9, v5, vcc
	v_mov_b32_e32 v9, 0xfff00000
	v_cmp_neq_f64_e32 vcc, 0, v[4:5]
	v_cndmask_b32_e32 v5, v9, v8, vcc
	v_cndmask_b32_e32 v4, 0, v1, vcc
	v_mul_f64 v[4:5], v[4:5], v[6:7]
	v_fma_f64 v[4:5], v[2:3], 0.5, -v[4:5]
                                        ; implicit-def: $vgpr2_vgpr3
.LBB7_220:
	s_andn2_saveexec_b64 s[10:11], s[10:11]
	s_cbranch_execz .LBB7_222
; %bb.221:
	s_mov_b32 s12, 0
	s_mov_b32 s13, 0x40200000
	v_div_scale_f64 v[4:5], s[14:15], v[2:3], v[2:3], s[12:13]
	v_rcp_f64_e32 v[6:7], v[4:5]
	v_mov_b32_e32 v12, 0xfca7ab0c
	v_mov_b32_e32 v13, 0x3e928af3
	;; [unrolled: 1-line block ×3, first 2 shown]
	v_fma_f64 v[8:9], -v[4:5], v[6:7], 1.0
	v_fmac_f64_e32 v[6:7], v[6:7], v[8:9]
	v_fma_f64 v[8:9], -v[4:5], v[6:7], 1.0
	v_fmac_f64_e32 v[6:7], v[6:7], v[8:9]
	v_div_scale_f64 v[8:9], vcc, s[12:13], v[2:3], s[12:13]
	v_mul_f64 v[10:11], v[8:9], v[6:7]
	v_fma_f64 v[4:5], -v[4:5], v[10:11], v[8:9]
	v_mov_b32_e32 v8, 0xcf8c9ee1
	s_nop 0
	v_div_fmas_f64 v[4:5], v[4:5], v[6:7], v[10:11]
	v_div_fixup_f64 v[4:5], v[4:5], v[2:3], s[12:13]
	s_mov_b32 s12, 0xcf8c9ee1
	v_add_f64 v[4:5], v[4:5], -2.0
	v_mov_b32_e32 v6, 0x93812603
	v_mov_b32_e32 v7, 0xbc72fecc
	s_mov_b32 s13, 0x3c5871a5
	v_fmac_f64_e32 v[6:7], s[12:13], v[4:5]
	v_mov_b32_e32 v9, 0xbc5871a5
	s_mov_b32 s12, 0x41a8cdf4
	v_fmac_f64_e32 v[8:9], v[4:5], v[6:7]
	s_mov_b32 s13, 0x3c8e092e
	v_add_f64 v[8:9], v[8:9], s[12:13]
	s_mov_b32 s12, 0x74d77641
	v_fma_f64 v[6:7], v[4:5], v[8:9], -v[6:7]
	s_mov_b32 s13, 0xbca82f94
	v_add_f64 v[6:7], v[6:7], s[12:13]
	s_mov_b32 s12, 0x6b94785b
	v_fma_f64 v[8:9], v[4:5], v[6:7], -v[8:9]
	;; [unrolled: 4-line block ×22, first 2 shown]
	s_mov_b32 s13, 0x400385bd
	v_add_f64 v[4:5], v[4:5], s[12:13]
	s_mov_b32 s12, 0x652b82fe
	s_mov_b32 s13, 0xbff71547
	v_mul_f64 v[6:7], v[2:3], s[12:13]
	s_mov_b32 s12, 0xfefa39ef
	v_rndne_f64_e32 v[6:7], v[6:7]
	s_mov_b32 s13, 0xbfe62e42
	v_fma_f64 v[10:11], v[6:7], s[12:13], -v[2:3]
	s_mov_b32 s12, 0x3b39803f
	s_mov_b32 s13, 0xbc7abc9e
	v_fmac_f64_e32 v[10:11], s[12:13], v[6:7]
	s_mov_b32 s12, 0x6a5dcb37
	s_mov_b32 s13, 0x3e5ade15
	v_fmac_f64_e32 v[12:13], s[12:13], v[10:11]
	v_mov_b32_e32 v15, 0x3ec71dee
	v_fmac_f64_e32 v[14:15], v[10:11], v[12:13]
	v_mov_b32_e32 v12, 0x7c89e6b0
	v_mov_b32_e32 v13, 0x3efa0199
	v_fmac_f64_e32 v[12:13], v[10:11], v[14:15]
	v_mov_b32_e32 v14, 0x14761f6e
	;; [unrolled: 3-line block ×7, first 2 shown]
	v_mov_b32_e32 v13, 0x3fe00000
	v_fmac_f64_e32 v[12:13], v[10:11], v[14:15]
	s_mov_b32 s12, 0
	v_fma_f64 v[12:13], v[10:11], v[12:13], 1.0
	s_mov_b32 s13, 0x4090cc00
	v_fma_f64 v[10:11], v[10:11], v[12:13], 1.0
	v_cvt_i32_f64_e32 v1, v[6:7]
	v_cmp_nlt_f64_e32 vcc, s[12:13], v[2:3]
	s_mov_b32 s12, 0
	v_ldexp_f64 v[6:7], v[10:11], v1
	s_brev_b32 s13, 8
	v_cndmask_b32_e32 v7, 0, v7, vcc
	v_cndmask_b32_e32 v6, 0, v6, vcc
	v_cmp_gt_f64_e32 vcc, s[12:13], v[2:3]
	v_cndmask_b32_e64 v1, 0, 1, vcc
	v_lshlrev_b32_e32 v1, 8, v1
	v_ldexp_f64 v[2:3], v[2:3], v1
	v_rsq_f64_e32 v[10:11], v[2:3]
	v_add_f64 v[4:5], v[4:5], -v[8:9]
	v_mul_f64 v[4:5], v[4:5], 0.5
	v_mul_f64 v[4:5], v[6:7], v[4:5]
	v_mul_f64 v[6:7], v[2:3], v[10:11]
	v_mul_f64 v[8:9], v[10:11], 0.5
	v_fma_f64 v[10:11], -v[8:9], v[6:7], 0.5
	v_fmac_f64_e32 v[6:7], v[6:7], v[10:11]
	v_fma_f64 v[12:13], -v[6:7], v[6:7], v[2:3]
	v_fmac_f64_e32 v[8:9], v[8:9], v[10:11]
	v_fmac_f64_e32 v[6:7], v[12:13], v[8:9]
	v_fma_f64 v[10:11], -v[6:7], v[6:7], v[2:3]
	v_mov_b32_e32 v1, 0xffffff80
	v_fmac_f64_e32 v[6:7], v[10:11], v[8:9]
	v_cndmask_b32_e32 v1, 0, v1, vcc
	v_ldexp_f64 v[6:7], v[6:7], v1
	v_mov_b32_e32 v1, 0x260
	v_cmp_class_f64_e32 vcc, v[2:3], v1
	v_cndmask_b32_e32 v3, v7, v3, vcc
	v_cndmask_b32_e32 v2, v6, v2, vcc
	v_div_scale_f64 v[6:7], s[12:13], v[2:3], v[2:3], v[4:5]
	v_rcp_f64_e32 v[8:9], v[6:7]
	v_fma_f64 v[10:11], -v[6:7], v[8:9], 1.0
	v_fmac_f64_e32 v[8:9], v[8:9], v[10:11]
	v_fma_f64 v[10:11], -v[6:7], v[8:9], 1.0
	v_fmac_f64_e32 v[8:9], v[8:9], v[10:11]
	v_div_scale_f64 v[10:11], vcc, v[4:5], v[2:3], v[4:5]
	v_mul_f64 v[12:13], v[10:11], v[8:9]
	v_fma_f64 v[6:7], -v[6:7], v[12:13], v[10:11]
	s_nop 1
	v_div_fmas_f64 v[6:7], v[6:7], v[8:9], v[12:13]
	v_div_fixup_f64 v[4:5], v[6:7], v[2:3], v[4:5]
.LBB7_222:
	s_or_b64 exec, exec, s[10:11]
.LBB7_223:
	s_or_b64 exec, exec, s[8:9]
.LBB7_224:
	s_or_b64 exec, exec, s[2:3]
	global_store_dwordx2 v0, v[4:5], s[0:1]
	s_or_b64 exec, exec, s[48:49]
                                        ; implicit-def: $vgpr9
                                        ; implicit-def: $vgpr8
	s_andn2_saveexec_b64 s[0:1], s[34:35]
	s_cbranch_execz .LBB7_175
	s_branch .LBB7_9
	.section	.rodata,"a",@progbits
	.p2align	6, 0x0
	.amdhsa_kernel _ZN2at6native32elementwise_kernel_manual_unrollILi128ELi4EZNS0_22gpu_kernel_impl_nocastIZZZNS0_12_GLOBAL__N_130modified_bessel_k0_kernel_cudaERNS_18TensorIteratorBaseEENKUlvE_clEvENKUlvE_clEvEUldE_EEvS5_RKT_EUlibE_EEviT1_
		.amdhsa_group_segment_fixed_size 0
		.amdhsa_private_segment_fixed_size 0
		.amdhsa_kernarg_size 360
		.amdhsa_user_sgpr_count 6
		.amdhsa_user_sgpr_private_segment_buffer 1
		.amdhsa_user_sgpr_dispatch_ptr 0
		.amdhsa_user_sgpr_queue_ptr 0
		.amdhsa_user_sgpr_kernarg_segment_ptr 1
		.amdhsa_user_sgpr_dispatch_id 0
		.amdhsa_user_sgpr_flat_scratch_init 0
		.amdhsa_user_sgpr_kernarg_preload_length 0
		.amdhsa_user_sgpr_kernarg_preload_offset 0
		.amdhsa_user_sgpr_private_segment_size 0
		.amdhsa_uses_dynamic_stack 0
		.amdhsa_system_sgpr_private_segment_wavefront_offset 0
		.amdhsa_system_sgpr_workgroup_id_x 1
		.amdhsa_system_sgpr_workgroup_id_y 0
		.amdhsa_system_sgpr_workgroup_id_z 0
		.amdhsa_system_sgpr_workgroup_info 0
		.amdhsa_system_vgpr_workitem_id 0
		.amdhsa_next_free_vgpr 36
		.amdhsa_next_free_sgpr 60
		.amdhsa_accum_offset 36
		.amdhsa_reserve_vcc 1
		.amdhsa_reserve_flat_scratch 0
		.amdhsa_float_round_mode_32 0
		.amdhsa_float_round_mode_16_64 0
		.amdhsa_float_denorm_mode_32 3
		.amdhsa_float_denorm_mode_16_64 3
		.amdhsa_dx10_clamp 1
		.amdhsa_ieee_mode 1
		.amdhsa_fp16_overflow 0
		.amdhsa_tg_split 0
		.amdhsa_exception_fp_ieee_invalid_op 0
		.amdhsa_exception_fp_denorm_src 0
		.amdhsa_exception_fp_ieee_div_zero 0
		.amdhsa_exception_fp_ieee_overflow 0
		.amdhsa_exception_fp_ieee_underflow 0
		.amdhsa_exception_fp_ieee_inexact 0
		.amdhsa_exception_int_div_zero 0
	.end_amdhsa_kernel
	.section	.text._ZN2at6native32elementwise_kernel_manual_unrollILi128ELi4EZNS0_22gpu_kernel_impl_nocastIZZZNS0_12_GLOBAL__N_130modified_bessel_k0_kernel_cudaERNS_18TensorIteratorBaseEENKUlvE_clEvENKUlvE_clEvEUldE_EEvS5_RKT_EUlibE_EEviT1_,"axG",@progbits,_ZN2at6native32elementwise_kernel_manual_unrollILi128ELi4EZNS0_22gpu_kernel_impl_nocastIZZZNS0_12_GLOBAL__N_130modified_bessel_k0_kernel_cudaERNS_18TensorIteratorBaseEENKUlvE_clEvENKUlvE_clEvEUldE_EEvS5_RKT_EUlibE_EEviT1_,comdat
.Lfunc_end7:
	.size	_ZN2at6native32elementwise_kernel_manual_unrollILi128ELi4EZNS0_22gpu_kernel_impl_nocastIZZZNS0_12_GLOBAL__N_130modified_bessel_k0_kernel_cudaERNS_18TensorIteratorBaseEENKUlvE_clEvENKUlvE_clEvEUldE_EEvS5_RKT_EUlibE_EEviT1_, .Lfunc_end7-_ZN2at6native32elementwise_kernel_manual_unrollILi128ELi4EZNS0_22gpu_kernel_impl_nocastIZZZNS0_12_GLOBAL__N_130modified_bessel_k0_kernel_cudaERNS_18TensorIteratorBaseEENKUlvE_clEvENKUlvE_clEvEUldE_EEvS5_RKT_EUlibE_EEviT1_
                                        ; -- End function
	.section	.AMDGPU.csdata,"",@progbits
; Kernel info:
; codeLenInByte = 48936
; NumSgprs: 64
; NumVgprs: 36
; NumAgprs: 0
; TotalNumVgprs: 36
; ScratchSize: 0
; MemoryBound: 0
; FloatMode: 240
; IeeeMode: 1
; LDSByteSize: 0 bytes/workgroup (compile time only)
; SGPRBlocks: 7
; VGPRBlocks: 4
; NumSGPRsForWavesPerEU: 64
; NumVGPRsForWavesPerEU: 36
; AccumOffset: 36
; Occupancy: 8
; WaveLimiterHint : 1
; COMPUTE_PGM_RSRC2:SCRATCH_EN: 0
; COMPUTE_PGM_RSRC2:USER_SGPR: 6
; COMPUTE_PGM_RSRC2:TRAP_HANDLER: 0
; COMPUTE_PGM_RSRC2:TGID_X_EN: 1
; COMPUTE_PGM_RSRC2:TGID_Y_EN: 0
; COMPUTE_PGM_RSRC2:TGID_Z_EN: 0
; COMPUTE_PGM_RSRC2:TIDIG_COMP_CNT: 0
; COMPUTE_PGM_RSRC3_GFX90A:ACCUM_OFFSET: 8
; COMPUTE_PGM_RSRC3_GFX90A:TG_SPLIT: 0
	.text
	.p2align	2                               ; -- Begin function _ZN2at6native6invokeIZZZNS0_12_GLOBAL__N_130modified_bessel_k0_kernel_cudaERNS_18TensorIteratorBaseEENKUlvE_clEvENKUlvE_clEvEUldE_i15function_traitsIS7_EEENT1_11result_typeERKT_PrKPcPKT0_PKN3c1010ScalarTypeEi
	.type	_ZN2at6native6invokeIZZZNS0_12_GLOBAL__N_130modified_bessel_k0_kernel_cudaERNS_18TensorIteratorBaseEENKUlvE_clEvENKUlvE_clEvEUldE_i15function_traitsIS7_EEENT1_11result_typeERKT_PrKPcPKT0_PKN3c1010ScalarTypeEi,@function
_ZN2at6native6invokeIZZZNS0_12_GLOBAL__N_130modified_bessel_k0_kernel_cudaERNS_18TensorIteratorBaseEENKUlvE_clEvENKUlvE_clEvEUldE_i15function_traitsIS7_EEENT1_11result_typeERKT_PrKPcPKT0_PKN3c1010ScalarTypeEi: ; @_ZN2at6native6invokeIZZZNS0_12_GLOBAL__N_130modified_bessel_k0_kernel_cudaERNS_18TensorIteratorBaseEENKUlvE_clEvENKUlvE_clEvEUldE_i15function_traitsIS7_EEENT1_11result_typeERKT_PrKPcPKT0_PKN3c1010ScalarTypeEi
; %bb.0:
	s_waitcnt vmcnt(0) expcnt(0) lgkmcnt(0)
	v_mul_lo_u32 v2, v4, v2
	v_ashrrev_i32_e32 v4, 31, v2
	v_add_co_u32_e32 v0, vcc, v0, v2
	v_mov_b32_e32 v2, 10
	v_addc_co_u32_e32 v1, vcc, v1, v4, vcc
	v_cmp_gt_i16_sdwa s[4:5], v3, v2 src0_sel:BYTE_0 src1_sel:DWORD
	s_mov_b64 s[6:7], 0
                                        ; implicit-def: $vgpr4_vgpr5
	s_and_saveexec_b64 s[8:9], s[4:5]
	s_xor_b64 s[4:5], exec, s[8:9]
	s_cbranch_execnz .LBB8_4
; %bb.1:
	s_andn2_saveexec_b64 s[4:5], s[4:5]
	s_cbranch_execnz .LBB8_10
.LBB8_2:
	s_or_b64 exec, exec, s[4:5]
                                        ; implicit-def: $vgpr0_vgpr1
	s_and_saveexec_b64 s[4:5], s[6:7]
	s_cbranch_execnz .LBB8_51
.LBB8_3:
	s_or_b64 exec, exec, s[4:5]
	s_waitcnt vmcnt(0) lgkmcnt(0)
	s_setpc_b64 s[30:31]
.LBB8_4:
	v_mov_b32_e32 v2, 25
	v_cmp_gt_i16_sdwa s[10:11], v3, v2 src0_sel:BYTE_0 src1_sel:DWORD
	s_mov_b64 s[12:13], 0
	s_mov_b64 s[8:9], 0
                                        ; implicit-def: $vgpr4_vgpr5
	s_and_saveexec_b64 s[14:15], s[10:11]
	s_xor_b64 s[10:11], exec, s[14:15]
	s_cbranch_execnz .LBB8_64
; %bb.5:
	s_andn2_saveexec_b64 s[10:11], s[10:11]
	s_cbranch_execnz .LBB8_95
.LBB8_6:
	s_or_b64 exec, exec, s[10:11]
	s_and_saveexec_b64 s[10:11], s[12:13]
	s_cbranch_execnz .LBB8_118
.LBB8_7:
	s_or_b64 exec, exec, s[10:11]
	s_and_saveexec_b64 s[10:11], s[6:7]
	s_xor_b64 s[6:7], exec, s[10:11]
	s_cbranch_execz .LBB8_9
.LBB8_8:
	flat_load_ubyte v0, v[0:1]
	v_mov_b32_e32 v1, 0x3ff00000
	v_mov_b32_e32 v4, 0
	s_or_b64 s[8:9], s[8:9], exec
	s_waitcnt vmcnt(0) lgkmcnt(0)
	v_cmp_ne_u16_e32 vcc, 0, v0
	v_cndmask_b32_e32 v5, 0, v1, vcc
.LBB8_9:
	s_or_b64 exec, exec, s[6:7]
	s_and_b64 s[6:7], s[8:9], exec
                                        ; implicit-def: $vgpr3
                                        ; implicit-def: $vgpr0_vgpr1
	s_andn2_saveexec_b64 s[4:5], s[4:5]
	s_cbranch_execz .LBB8_2
.LBB8_10:
	v_mov_b32_e32 v2, 4
	v_cmp_gt_i16_sdwa s[8:9], v3, v2 src0_sel:BYTE_0 src1_sel:DWORD
                                        ; implicit-def: $vgpr4_vgpr5
	s_and_saveexec_b64 s[10:11], s[8:9]
	s_xor_b64 s[8:9], exec, s[10:11]
	s_cbranch_execz .LBB8_32
; %bb.11:
	v_mov_b32_e32 v2, 7
	v_cmp_gt_i16_sdwa s[10:11], v3, v2 src0_sel:BYTE_0 src1_sel:DWORD
                                        ; implicit-def: $vgpr4_vgpr5
	s_and_saveexec_b64 s[12:13], s[10:11]
	s_xor_b64 s[10:11], exec, s[12:13]
	s_cbranch_execz .LBB8_21
; %bb.12:
	;; [unrolled: 7-line block ×4, first 2 shown]
	flat_load_dwordx2 v[4:5], v[0:1]
                                        ; implicit-def: $vgpr0_vgpr1
.LBB8_15:
	s_andn2_saveexec_b64 s[14:15], s[14:15]
	s_cbranch_execz .LBB8_17
; %bb.16:
	flat_load_dword v0, v[0:1]
	s_waitcnt vmcnt(0) lgkmcnt(0)
	v_cvt_f64_f32_e32 v[4:5], v0
.LBB8_17:
	s_or_b64 exec, exec, s[14:15]
                                        ; implicit-def: $vgpr0_vgpr1
.LBB8_18:
	s_andn2_saveexec_b64 s[12:13], s[12:13]
	s_cbranch_execz .LBB8_20
; %bb.19:
	flat_load_dword v0, v[0:1]
	s_waitcnt vmcnt(0) lgkmcnt(0)
	v_cvt_f32_f16_e32 v0, v0
	v_cvt_f64_f32_e32 v[4:5], v0
.LBB8_20:
	s_or_b64 exec, exec, s[12:13]
                                        ; implicit-def: $vgpr0_vgpr1
                                        ; implicit-def: $vgpr3
.LBB8_21:
	s_andn2_saveexec_b64 s[10:11], s[10:11]
	s_cbranch_execz .LBB8_31
; %bb.22:
	v_mov_b32_e32 v2, 5
	v_cmp_gt_i16_sdwa s[12:13], v3, v2 src0_sel:BYTE_0 src1_sel:DWORD
                                        ; implicit-def: $vgpr4_vgpr5
	s_and_saveexec_b64 s[14:15], s[12:13]
	s_xor_b64 s[12:13], exec, s[14:15]
	s_cbranch_execz .LBB8_28
; %bb.23:
	v_mov_b32_e32 v2, 6
	v_cmp_gt_i16_sdwa s[14:15], v3, v2 src0_sel:BYTE_0 src1_sel:DWORD
                                        ; implicit-def: $vgpr4_vgpr5
	s_and_saveexec_b64 s[16:17], s[14:15]
	s_xor_b64 s[14:15], exec, s[16:17]
	s_cbranch_execz .LBB8_25
; %bb.24:
	s_waitcnt vmcnt(0) lgkmcnt(0)
	flat_load_dwordx2 v[4:5], v[0:1]
                                        ; implicit-def: $vgpr0_vgpr1
.LBB8_25:
	s_andn2_saveexec_b64 s[14:15], s[14:15]
	s_cbranch_execz .LBB8_27
; %bb.26:
	flat_load_dword v0, v[0:1]
	s_waitcnt vmcnt(0) lgkmcnt(0)
	v_cvt_f64_f32_e32 v[4:5], v0
.LBB8_27:
	s_or_b64 exec, exec, s[14:15]
                                        ; implicit-def: $vgpr0_vgpr1
.LBB8_28:
	s_andn2_saveexec_b64 s[12:13], s[12:13]
	s_cbranch_execz .LBB8_30
; %bb.29:
	flat_load_ushort v0, v[0:1]
	s_waitcnt vmcnt(0) lgkmcnt(0)
	v_cvt_f32_f16_e32 v0, v0
	v_cvt_f64_f32_e32 v[4:5], v0
.LBB8_30:
	s_or_b64 exec, exec, s[12:13]
.LBB8_31:
	s_or_b64 exec, exec, s[10:11]
                                        ; implicit-def: $vgpr3
                                        ; implicit-def: $vgpr0_vgpr1
.LBB8_32:
	s_andn2_saveexec_b64 s[8:9], s[8:9]
	s_cbranch_execz .LBB8_50
; %bb.33:
	v_mov_b32_e32 v2, 1
	v_cmp_gt_i16_sdwa s[10:11], v3, v2 src0_sel:BYTE_0 src1_sel:DWORD
                                        ; implicit-def: $vgpr4_vgpr5
	s_and_saveexec_b64 s[12:13], s[10:11]
	s_xor_b64 s[10:11], exec, s[12:13]
	s_cbranch_execz .LBB8_43
; %bb.34:
	v_mov_b32_e32 v2, 2
	v_cmp_gt_i16_sdwa s[12:13], v3, v2 src0_sel:BYTE_0 src1_sel:DWORD
                                        ; implicit-def: $vgpr4_vgpr5
	s_and_saveexec_b64 s[14:15], s[12:13]
	s_xor_b64 s[12:13], exec, s[14:15]
	;; [unrolled: 7-line block ×3, first 2 shown]
	s_cbranch_execz .LBB8_37
; %bb.36:
	flat_load_dwordx2 v[0:1], v[0:1]
	s_waitcnt vmcnt(0) lgkmcnt(0)
	v_cvt_f64_i32_e32 v[2:3], v1
	v_ldexp_f64 v[2:3], v[2:3], 32
	v_cvt_f64_u32_e32 v[0:1], v0
	v_add_f64 v[4:5], v[2:3], v[0:1]
                                        ; implicit-def: $vgpr0_vgpr1
.LBB8_37:
	s_andn2_saveexec_b64 s[14:15], s[14:15]
	s_cbranch_execz .LBB8_39
; %bb.38:
	flat_load_dword v0, v[0:1]
	s_waitcnt vmcnt(0) lgkmcnt(0)
	v_cvt_f64_i32_e32 v[4:5], v0
.LBB8_39:
	s_or_b64 exec, exec, s[14:15]
                                        ; implicit-def: $vgpr0_vgpr1
.LBB8_40:
	s_andn2_saveexec_b64 s[12:13], s[12:13]
	s_cbranch_execz .LBB8_42
; %bb.41:
	flat_load_sshort v0, v[0:1]
	s_waitcnt vmcnt(0) lgkmcnt(0)
	v_cvt_f64_i32_e32 v[4:5], v0
.LBB8_42:
	s_or_b64 exec, exec, s[12:13]
                                        ; implicit-def: $vgpr0_vgpr1
                                        ; implicit-def: $vgpr3
.LBB8_43:
	s_andn2_saveexec_b64 s[10:11], s[10:11]
	s_cbranch_execz .LBB8_49
; %bb.44:
	v_mov_b32_e32 v2, 0
	v_cmp_gt_i16_sdwa s[12:13], v3, v2 src0_sel:BYTE_0 src1_sel:DWORD
                                        ; implicit-def: $vgpr4_vgpr5
	s_and_saveexec_b64 s[14:15], s[12:13]
	s_xor_b64 s[12:13], exec, s[14:15]
	s_cbranch_execz .LBB8_46
; %bb.45:
	flat_load_sbyte v0, v[0:1]
	s_waitcnt vmcnt(0) lgkmcnt(0)
	v_cvt_f64_i32_e32 v[4:5], v0
                                        ; implicit-def: $vgpr0_vgpr1
.LBB8_46:
	s_andn2_saveexec_b64 s[12:13], s[12:13]
	s_cbranch_execz .LBB8_48
; %bb.47:
	flat_load_ubyte v0, v[0:1]
	s_waitcnt vmcnt(0) lgkmcnt(0)
	v_cvt_f64_u32_e32 v[4:5], v0
.LBB8_48:
	s_or_b64 exec, exec, s[12:13]
.LBB8_49:
	s_or_b64 exec, exec, s[10:11]
.LBB8_50:
	s_or_b64 exec, exec, s[8:9]
	s_or_b64 s[6:7], s[6:7], exec
	s_or_b64 exec, exec, s[4:5]
                                        ; implicit-def: $vgpr0_vgpr1
	s_and_saveexec_b64 s[4:5], s[6:7]
	s_cbranch_execz .LBB8_3
.LBB8_51:
	v_mov_b32_e32 v0, 0
	s_waitcnt vmcnt(0) lgkmcnt(0)
	v_cmp_neq_f64_e32 vcc, 0, v[4:5]
	v_mov_b32_e32 v1, 0x7ff00000
	s_and_saveexec_b64 s[6:7], vcc
	s_cbranch_execz .LBB8_63
; %bb.52:
	v_mov_b32_e32 v0, 0
	v_cmp_ngt_f64_e32 vcc, 0, v[4:5]
	v_mov_b32_e32 v1, 0x7ff80000
	s_and_saveexec_b64 s[8:9], vcc
	s_cbranch_execz .LBB8_62
; %bb.53:
	v_cmp_ge_f64_e32 vcc, 2.0, v[4:5]
                                        ; implicit-def: $vgpr0_vgpr1
	s_and_saveexec_b64 s[10:11], vcc
	s_xor_b64 s[10:11], exec, s[10:11]
	s_cbranch_execz .LBB8_59
; %bb.54:
	s_mov_b32 s12, 0
	s_mov_b32 s13, 0x40200000
	v_mul_f64 v[0:1], v[4:5], 0.5
	v_cmp_ge_f64_e32 vcc, s[12:13], v[4:5]
                                        ; implicit-def: $vgpr2_vgpr3
	s_and_saveexec_b64 s[12:13], vcc
	s_xor_b64 s[12:13], exec, s[12:13]
	s_cbranch_execz .LBB8_56
; %bb.55:
	s_mov_b32 s14, 0x2134d0ef
	v_add_f64 v[2:3], v[0:1], -2.0
	v_mov_b32_e32 v6, 0x977da589
	v_mov_b32_e32 v7, 0x3c833362
	s_mov_b32 s15, 0xbc545cb7
	v_fmac_f64_e32 v[6:7], s[14:15], v[2:3]
	v_mov_b32_e32 v8, 0x2134d0ef
	v_mov_b32_e32 v9, 0x3c545cb7
	s_mov_b32 s14, 0x721ebbb4
	v_fmac_f64_e32 v[8:9], v[2:3], v[6:7]
	s_mov_b32 s15, 0xbcb184eb
	v_add_f64 v[8:9], v[8:9], s[14:15]
	s_mov_b32 s14, 0x93f65eba
	v_fma_f64 v[6:7], v[2:3], v[8:9], -v[6:7]
	s_mov_b32 s15, 0x3cdee6d8
	v_add_f64 v[6:7], v[6:7], s[14:15]
	s_mov_b32 s14, 0xc297fbeb
	v_fma_f64 v[8:9], v[2:3], v[6:7], -v[8:9]
	;; [unrolled: 4-line block ×27, first 2 shown]
	s_mov_b32 s15, 0x3fe5a84e
	v_add_f64 v[2:3], v[2:3], s[14:15]
	s_mov_b32 s14, 0x652b82fe
	s_mov_b32 s15, 0x3ff71547
	v_mul_f64 v[8:9], v[4:5], s[14:15]
	s_mov_b32 s14, 0xfefa39ef
	v_rndne_f64_e32 v[8:9], v[8:9]
	s_mov_b32 s15, 0xbfe62e42
	v_fma_f64 v[10:11], s[14:15], v[8:9], v[4:5]
	s_mov_b32 s14, 0x3b39803f
	s_mov_b32 s15, 0xbc7abc9e
	v_fmac_f64_e32 v[10:11], s[14:15], v[8:9]
	s_mov_b32 s14, 0x6a5dcb37
	v_mov_b32_e32 v12, 0xfca7ab0c
	v_mov_b32_e32 v13, 0x3e928af3
	s_mov_b32 s15, 0x3e5ade15
	v_fmac_f64_e32 v[12:13], s[14:15], v[10:11]
	v_mov_b32_e32 v14, 0x623fde64
	v_mov_b32_e32 v15, 0x3ec71dee
	v_fmac_f64_e32 v[14:15], v[10:11], v[12:13]
	v_mov_b32_e32 v12, 0x7c89e6b0
	v_mov_b32_e32 v13, 0x3efa0199
	;; [unrolled: 3-line block ×8, first 2 shown]
	v_fmac_f64_e32 v[12:13], v[10:11], v[14:15]
	v_fma_f64 v[12:13], v[10:11], v[12:13], 1.0
	s_mov_b32 s14, 0
	v_fma_f64 v[10:11], v[10:11], v[12:13], 1.0
	v_cvt_i32_f64_e32 v8, v[8:9]
	s_mov_b32 s15, 0x40900000
	v_ldexp_f64 v[8:9], v[10:11], v8
	v_mov_b32_e32 v10, 0x7ff00000
	v_cmp_nlt_f64_e32 vcc, s[14:15], v[4:5]
	v_add_f64 v[2:3], v[2:3], -v[6:7]
	v_cndmask_b32_e32 v9, v10, v9, vcc
	v_cndmask_b32_e32 v8, 0, v8, vcc
	v_mul_f64 v[2:3], v[2:3], 0.5
	v_mul_f64 v[2:3], v[8:9], v[2:3]
.LBB8_56:
	s_andn2_saveexec_b64 s[12:13], s[12:13]
	s_cbranch_execz .LBB8_58
; %bb.57:
	s_mov_b32 s14, 0
	s_mov_b32 s15, 0x40400000
	v_div_scale_f64 v[2:3], s[16:17], v[4:5], v[4:5], s[14:15]
	v_rcp_f64_e32 v[6:7], v[2:3]
	v_mov_b32_e32 v12, 0xfca7ab0c
	v_mov_b32_e32 v13, 0x3e928af3
	;; [unrolled: 1-line block ×3, first 2 shown]
	v_fma_f64 v[8:9], -v[2:3], v[6:7], 1.0
	v_fmac_f64_e32 v[6:7], v[6:7], v[8:9]
	v_fma_f64 v[8:9], -v[2:3], v[6:7], 1.0
	v_fmac_f64_e32 v[6:7], v[6:7], v[8:9]
	v_div_scale_f64 v[8:9], vcc, s[14:15], v[4:5], s[14:15]
	v_mul_f64 v[10:11], v[8:9], v[6:7]
	v_fma_f64 v[2:3], -v[2:3], v[10:11], v[8:9]
	v_mov_b32_e32 v8, 0x54ca8b19
	s_nop 0
	v_div_fmas_f64 v[2:3], v[2:3], v[6:7], v[10:11]
	v_div_fixup_f64 v[2:3], v[2:3], v[4:5], s[14:15]
	s_mov_b32 s14, 0x54ca8b19
	v_add_f64 v[2:3], v[2:3], -2.0
	v_mov_b32_e32 v6, 0x66119130
	v_mov_b32_e32 v7, 0xbc5646da
	s_mov_b32 s15, 0xbc60adb7
	v_fmac_f64_e32 v[6:7], s[14:15], v[2:3]
	v_mov_b32_e32 v9, 0x3c60adb7
	s_mov_b32 s14, 0x12d98421
	v_fmac_f64_e32 v[8:9], v[2:3], v[6:7]
	s_mov_b32 s15, 0x3c89be18
	v_add_f64 v[8:9], v[8:9], s[14:15]
	s_mov_b32 s14, 0x76041cd
	v_fma_f64 v[6:7], v[2:3], v[8:9], -v[6:7]
	s_mov_b32 s15, 0x3c83f3dd
	v_add_f64 v[6:7], v[6:7], s[14:15]
	s_mov_b32 s14, 0xabd21fe4
	v_fma_f64 v[8:9], v[2:3], v[6:7], -v[8:9]
	;; [unrolled: 4-line block ×22, first 2 shown]
	s_mov_b32 s15, 0x3fe9be62
	v_add_f64 v[2:3], v[2:3], s[14:15]
	s_mov_b32 s14, 0x652b82fe
	s_mov_b32 s15, 0x3ff71547
	v_mul_f64 v[8:9], v[4:5], s[14:15]
	s_mov_b32 s14, 0xfefa39ef
	v_rndne_f64_e32 v[8:9], v[8:9]
	s_mov_b32 s15, 0xbfe62e42
	v_fma_f64 v[10:11], s[14:15], v[8:9], v[4:5]
	s_mov_b32 s14, 0x3b39803f
	s_mov_b32 s15, 0xbc7abc9e
	v_fmac_f64_e32 v[10:11], s[14:15], v[8:9]
	s_mov_b32 s14, 0x6a5dcb37
	s_mov_b32 s15, 0x3e5ade15
	v_fmac_f64_e32 v[12:13], s[14:15], v[10:11]
	v_mov_b32_e32 v15, 0x3ec71dee
	v_fmac_f64_e32 v[14:15], v[10:11], v[12:13]
	v_mov_b32_e32 v12, 0x7c89e6b0
	v_mov_b32_e32 v13, 0x3efa0199
	v_fmac_f64_e32 v[12:13], v[10:11], v[14:15]
	v_mov_b32_e32 v14, 0x14761f6e
	;; [unrolled: 3-line block ×7, first 2 shown]
	v_mov_b32_e32 v13, 0x3fe00000
	v_fmac_f64_e32 v[12:13], v[10:11], v[14:15]
	s_mov_b32 s14, 0
	v_fma_f64 v[12:13], v[10:11], v[12:13], 1.0
	s_mov_b32 s15, 0x40900000
	v_fma_f64 v[10:11], v[10:11], v[12:13], 1.0
	v_cvt_i32_f64_e32 v8, v[8:9]
	v_cmp_nlt_f64_e32 vcc, s[14:15], v[4:5]
	s_mov_b32 s14, 0
	v_ldexp_f64 v[8:9], v[10:11], v8
	v_mov_b32_e32 v10, 0x7ff00000
	s_brev_b32 s15, 8
	v_cndmask_b32_e32 v9, v10, v9, vcc
	v_cndmask_b32_e32 v8, 0, v8, vcc
	v_cmp_gt_f64_e32 vcc, s[14:15], v[4:5]
	v_cndmask_b32_e64 v10, 0, 1, vcc
	v_lshlrev_b32_e32 v10, 8, v10
	v_ldexp_f64 v[10:11], v[4:5], v10
	v_rsq_f64_e32 v[12:13], v[10:11]
	v_add_f64 v[2:3], v[2:3], -v[6:7]
	v_mul_f64 v[2:3], v[2:3], 0.5
	v_mul_f64 v[2:3], v[8:9], v[2:3]
	v_mul_f64 v[6:7], v[10:11], v[12:13]
	v_mul_f64 v[8:9], v[12:13], 0.5
	v_fma_f64 v[12:13], -v[8:9], v[6:7], 0.5
	v_fmac_f64_e32 v[6:7], v[6:7], v[12:13]
	v_fma_f64 v[14:15], -v[6:7], v[6:7], v[10:11]
	v_fmac_f64_e32 v[8:9], v[8:9], v[12:13]
	v_fmac_f64_e32 v[6:7], v[14:15], v[8:9]
	v_fma_f64 v[12:13], -v[6:7], v[6:7], v[10:11]
	v_fmac_f64_e32 v[6:7], v[12:13], v[8:9]
	v_mov_b32_e32 v8, 0xffffff80
	v_cndmask_b32_e32 v8, 0, v8, vcc
	v_ldexp_f64 v[6:7], v[6:7], v8
	v_mov_b32_e32 v8, 0x260
	v_cmp_class_f64_e32 vcc, v[10:11], v8
	v_cndmask_b32_e32 v7, v7, v11, vcc
	v_cndmask_b32_e32 v6, v6, v10, vcc
	v_div_scale_f64 v[8:9], s[14:15], v[6:7], v[6:7], v[2:3]
	v_rcp_f64_e32 v[10:11], v[8:9]
	v_fma_f64 v[12:13], -v[8:9], v[10:11], 1.0
	v_fmac_f64_e32 v[10:11], v[10:11], v[12:13]
	v_fma_f64 v[12:13], -v[8:9], v[10:11], 1.0
	v_fmac_f64_e32 v[10:11], v[10:11], v[12:13]
	v_div_scale_f64 v[12:13], vcc, v[2:3], v[6:7], v[2:3]
	v_mul_f64 v[14:15], v[12:13], v[10:11]
	v_fma_f64 v[8:9], -v[8:9], v[14:15], v[12:13]
	s_nop 1
	v_div_fmas_f64 v[8:9], v[8:9], v[10:11], v[14:15]
	v_div_fixup_f64 v[2:3], v[8:9], v[6:7], v[2:3]
.LBB8_58:
	s_or_b64 exec, exec, s[12:13]
	s_mov_b32 s12, 0xe6a7fd77
	v_fma_f64 v[4:5], v[4:5], v[4:5], -2.0
	v_mov_b32_e32 v6, 0xc384c2aa
	v_mov_b32_e32 v7, 0x3d27fb0a
	s_mov_b32 s13, 0x3ca3cee1
	v_fmac_f64_e32 v[6:7], s[12:13], v[4:5]
	v_mov_b32_e32 v8, 0xe6a7fd77
	v_mov_b32_e32 v9, 0xbca3cee1
	s_mov_b32 s12, 0x47512144
	v_fmac_f64_e32 v[8:9], v[4:5], v[6:7]
	s_mov_b32 s13, 0x3da6c25c
	v_add_f64 v[8:9], v[8:9], s[12:13]
	s_mov_b32 s12, 0x67e58a13
	v_fma_f64 v[6:7], v[4:5], v[8:9], -v[6:7]
	s_mov_b32 s13, 0x3e205c13
	v_add_f64 v[6:7], v[6:7], s[12:13]
	s_mov_b32 s12, 0xe7f95efc
	v_fma_f64 v[8:9], v[4:5], v[6:7], -v[8:9]
	;; [unrolled: 4-line block ×7, first 2 shown]
	s_mov_b32 s13, 0xbfe12166
	v_add_f64 v[4:5], v[4:5], s[12:13]
	s_mov_b32 s12, 0x55555555
	v_add_f64 v[4:5], v[4:5], -v[6:7]
	v_frexp_mant_f64_e32 v[6:7], v[0:1]
	s_mov_b32 s13, 0x3fe55555
	v_mov_b32_e32 v8, 0x3ff00000
	v_cmp_gt_f64_e32 vcc, s[12:13], v[6:7]
	v_cndmask_b32_e64 v9, v8, 2.0, vcc
	v_mov_b32_e32 v8, 0
	v_mul_f64 v[6:7], v[6:7], v[8:9]
	v_frexp_exp_i32_f64_e32 v10, v[0:1]
	v_add_f64 v[8:9], v[6:7], 1.0
	v_subbrev_co_u32_e32 v20, vcc, 0, v10, vcc
	v_rcp_f64_e32 v[10:11], v[8:9]
	v_add_f64 v[14:15], v[8:9], -1.0
	v_add_f64 v[12:13], v[6:7], -1.0
	v_add_f64 v[6:7], v[6:7], -v[14:15]
	v_fma_f64 v[14:15], -v[8:9], v[10:11], 1.0
	v_fmac_f64_e32 v[10:11], v[14:15], v[10:11]
	v_fma_f64 v[14:15], -v[8:9], v[10:11], 1.0
	v_fmac_f64_e32 v[10:11], v[14:15], v[10:11]
	v_mul_f64 v[14:15], v[12:13], v[10:11]
	v_mul_f64 v[16:17], v[8:9], v[14:15]
	v_fma_f64 v[8:9], v[14:15], v[8:9], -v[16:17]
	v_fmac_f64_e32 v[8:9], v[14:15], v[6:7]
	v_add_f64 v[6:7], v[16:17], v[8:9]
	v_add_f64 v[18:19], v[12:13], -v[6:7]
	v_add_f64 v[16:17], v[6:7], -v[16:17]
	v_add_f64 v[12:13], v[12:13], -v[18:19]
	v_add_f64 v[6:7], v[12:13], -v[6:7]
	v_add_f64 v[8:9], v[16:17], -v[8:9]
	v_add_f64 v[6:7], v[8:9], v[6:7]
	v_add_f64 v[6:7], v[18:19], v[6:7]
	v_mul_f64 v[6:7], v[10:11], v[6:7]
	v_add_f64 v[8:9], v[14:15], v[6:7]
	v_add_f64 v[10:11], v[8:9], -v[14:15]
	s_mov_b32 s12, 0xbf559e2b
	v_add_f64 v[6:7], v[6:7], -v[10:11]
	v_mul_f64 v[10:11], v[8:9], v[8:9]
	v_mov_b32_e32 v12, 0x6b47b09a
	v_mov_b32_e32 v13, 0x3fc38538
	s_mov_b32 s13, 0x3fc3ab76
	v_fmac_f64_e32 v[12:13], s[12:13], v[10:11]
	v_mov_b32_e32 v14, 0xd7f4df2e
	v_mov_b32_e32 v15, 0x3fc7474d
	v_fmac_f64_e32 v[14:15], v[10:11], v[12:13]
	v_mov_b32_e32 v12, 0x16291751
	v_mov_b32_e32 v13, 0x3fcc71c0
	;; [unrolled: 3-line block ×5, first 2 shown]
	v_fmac_f64_e32 v[14:15], v[10:11], v[12:13]
	v_ldexp_f64 v[12:13], v[8:9], 1
	v_mul_f64 v[8:9], v[8:9], v[10:11]
	v_mul_f64 v[8:9], v[8:9], v[14:15]
	v_add_f64 v[10:11], v[12:13], v[8:9]
	v_add_f64 v[12:13], v[10:11], -v[12:13]
	v_ldexp_f64 v[6:7], v[6:7], 1
	v_add_f64 v[8:9], v[8:9], -v[12:13]
	v_add_f64 v[6:7], v[6:7], v[8:9]
	v_add_f64 v[8:9], v[10:11], v[6:7]
	v_add_f64 v[10:11], v[8:9], -v[10:11]
	s_mov_b32 s12, 0xfefa39ef
	v_add_f64 v[6:7], v[6:7], -v[10:11]
	v_cvt_f64_i32_e32 v[10:11], v20
	s_mov_b32 s13, 0x3fe62e42
	v_mul_f64 v[12:13], v[10:11], s[12:13]
	v_fma_f64 v[14:15], v[10:11], s[12:13], -v[12:13]
	s_mov_b32 s12, 0x3b39803f
	s_mov_b32 s13, 0x3c7abc9e
	v_fmac_f64_e32 v[14:15], s[12:13], v[10:11]
	v_add_f64 v[10:11], v[12:13], v[14:15]
	v_add_f64 v[12:13], v[10:11], -v[12:13]
	v_add_f64 v[12:13], v[14:15], -v[12:13]
	v_add_f64 v[14:15], v[10:11], v[8:9]
	v_add_f64 v[16:17], v[14:15], -v[10:11]
	v_add_f64 v[18:19], v[14:15], -v[16:17]
	;; [unrolled: 1-line block ×4, first 2 shown]
	v_add_f64 v[8:9], v[8:9], v[10:11]
	v_add_f64 v[10:11], v[12:13], v[6:7]
	v_add_f64 v[16:17], v[10:11], -v[12:13]
	v_add_f64 v[18:19], v[10:11], -v[16:17]
	v_add_f64 v[8:9], v[10:11], v[8:9]
	v_add_f64 v[12:13], v[12:13], -v[18:19]
	v_add_f64 v[6:7], v[6:7], -v[16:17]
	v_add_f64 v[10:11], v[14:15], v[8:9]
	v_add_f64 v[6:7], v[6:7], v[12:13]
	v_add_f64 v[12:13], v[10:11], -v[14:15]
	v_add_f64 v[8:9], v[8:9], -v[12:13]
	s_mov_b32 s12, 0
	v_add_f64 v[6:7], v[6:7], v[8:9]
	s_mov_b32 s13, 0x7ff00000
	v_add_f64 v[6:7], v[10:11], v[6:7]
	v_cmp_eq_f64_e32 vcc, s[12:13], v[0:1]
	v_cndmask_b32_e32 v6, v6, v0, vcc
	v_cndmask_b32_e32 v7, v7, v1, vcc
	v_mov_b32_e32 v8, 0xfff00000
	v_cmp_neq_f64_e32 vcc, 0, v[0:1]
	v_cndmask_b32_e32 v1, v8, v7, vcc
	v_cndmask_b32_e32 v0, 0, v6, vcc
	v_mul_f64 v[0:1], v[0:1], v[2:3]
	v_fma_f64 v[0:1], v[4:5], 0.5, -v[0:1]
                                        ; implicit-def: $vgpr4_vgpr5
.LBB8_59:
	s_andn2_saveexec_b64 s[10:11], s[10:11]
	s_cbranch_execz .LBB8_61
; %bb.60:
	s_mov_b32 s12, 0
	s_mov_b32 s13, 0x40200000
	v_div_scale_f64 v[0:1], s[14:15], v[4:5], v[4:5], s[12:13]
	v_rcp_f64_e32 v[2:3], v[0:1]
	v_mov_b32_e32 v10, 0xfca7ab0c
	v_mov_b32_e32 v11, 0x3e928af3
	;; [unrolled: 1-line block ×3, first 2 shown]
	v_fma_f64 v[6:7], -v[0:1], v[2:3], 1.0
	v_fmac_f64_e32 v[2:3], v[2:3], v[6:7]
	v_fma_f64 v[6:7], -v[0:1], v[2:3], 1.0
	v_fmac_f64_e32 v[2:3], v[2:3], v[6:7]
	v_div_scale_f64 v[6:7], vcc, s[12:13], v[4:5], s[12:13]
	v_mul_f64 v[8:9], v[6:7], v[2:3]
	v_fma_f64 v[0:1], -v[0:1], v[8:9], v[6:7]
	v_mov_b32_e32 v6, 0xcf8c9ee1
	s_nop 0
	v_div_fmas_f64 v[0:1], v[0:1], v[2:3], v[8:9]
	v_div_fixup_f64 v[0:1], v[0:1], v[4:5], s[12:13]
	s_mov_b32 s12, 0xcf8c9ee1
	v_add_f64 v[0:1], v[0:1], -2.0
	v_mov_b32_e32 v2, 0x93812603
	v_mov_b32_e32 v3, 0xbc72fecc
	s_mov_b32 s13, 0x3c5871a5
	v_fmac_f64_e32 v[2:3], s[12:13], v[0:1]
	v_mov_b32_e32 v7, 0xbc5871a5
	s_mov_b32 s12, 0x41a8cdf4
	v_fmac_f64_e32 v[6:7], v[0:1], v[2:3]
	s_mov_b32 s13, 0x3c8e092e
	v_add_f64 v[6:7], v[6:7], s[12:13]
	s_mov_b32 s12, 0x74d77641
	v_fma_f64 v[2:3], v[0:1], v[6:7], -v[2:3]
	s_mov_b32 s13, 0xbca82f94
	v_add_f64 v[2:3], v[2:3], s[12:13]
	s_mov_b32 s12, 0x6b94785b
	v_fma_f64 v[6:7], v[0:1], v[2:3], -v[6:7]
	;; [unrolled: 4-line block ×22, first 2 shown]
	s_mov_b32 s13, 0x400385bd
	v_add_f64 v[0:1], v[0:1], s[12:13]
	s_mov_b32 s12, 0x652b82fe
	s_mov_b32 s13, 0xbff71547
	v_mul_f64 v[6:7], v[4:5], s[12:13]
	s_mov_b32 s12, 0xfefa39ef
	v_rndne_f64_e32 v[6:7], v[6:7]
	s_mov_b32 s13, 0xbfe62e42
	v_fma_f64 v[8:9], v[6:7], s[12:13], -v[4:5]
	s_mov_b32 s12, 0x3b39803f
	s_mov_b32 s13, 0xbc7abc9e
	v_fmac_f64_e32 v[8:9], s[12:13], v[6:7]
	s_mov_b32 s12, 0x6a5dcb37
	s_mov_b32 s13, 0x3e5ade15
	v_fmac_f64_e32 v[10:11], s[12:13], v[8:9]
	v_mov_b32_e32 v13, 0x3ec71dee
	v_fmac_f64_e32 v[12:13], v[8:9], v[10:11]
	v_mov_b32_e32 v10, 0x7c89e6b0
	v_mov_b32_e32 v11, 0x3efa0199
	v_fmac_f64_e32 v[10:11], v[8:9], v[12:13]
	v_mov_b32_e32 v12, 0x14761f6e
	;; [unrolled: 3-line block ×7, first 2 shown]
	v_mov_b32_e32 v11, 0x3fe00000
	v_fmac_f64_e32 v[10:11], v[8:9], v[12:13]
	s_mov_b32 s12, 0
	v_fma_f64 v[10:11], v[8:9], v[10:11], 1.0
	s_mov_b32 s13, 0x4090cc00
	v_fma_f64 v[8:9], v[8:9], v[10:11], 1.0
	v_cvt_i32_f64_e32 v6, v[6:7]
	v_cmp_nlt_f64_e32 vcc, s[12:13], v[4:5]
	s_mov_b32 s12, 0
	v_ldexp_f64 v[6:7], v[8:9], v6
	s_brev_b32 s13, 8
	v_cndmask_b32_e32 v7, 0, v7, vcc
	v_cndmask_b32_e32 v6, 0, v6, vcc
	v_cmp_gt_f64_e32 vcc, s[12:13], v[4:5]
	v_cndmask_b32_e64 v8, 0, 1, vcc
	v_lshlrev_b32_e32 v8, 8, v8
	v_ldexp_f64 v[4:5], v[4:5], v8
	v_rsq_f64_e32 v[8:9], v[4:5]
	v_add_f64 v[0:1], v[0:1], -v[2:3]
	v_mul_f64 v[0:1], v[0:1], 0.5
	v_mul_f64 v[0:1], v[6:7], v[0:1]
	v_mul_f64 v[2:3], v[4:5], v[8:9]
	v_mul_f64 v[6:7], v[8:9], 0.5
	v_fma_f64 v[8:9], -v[6:7], v[2:3], 0.5
	v_fmac_f64_e32 v[2:3], v[2:3], v[8:9]
	v_fma_f64 v[10:11], -v[2:3], v[2:3], v[4:5]
	v_fmac_f64_e32 v[6:7], v[6:7], v[8:9]
	v_fmac_f64_e32 v[2:3], v[10:11], v[6:7]
	v_fma_f64 v[8:9], -v[2:3], v[2:3], v[4:5]
	v_fmac_f64_e32 v[2:3], v[8:9], v[6:7]
	v_mov_b32_e32 v6, 0xffffff80
	v_cndmask_b32_e32 v6, 0, v6, vcc
	v_ldexp_f64 v[2:3], v[2:3], v6
	v_mov_b32_e32 v6, 0x260
	v_cmp_class_f64_e32 vcc, v[4:5], v6
	v_cndmask_b32_e32 v3, v3, v5, vcc
	v_cndmask_b32_e32 v2, v2, v4, vcc
	v_div_scale_f64 v[4:5], s[12:13], v[2:3], v[2:3], v[0:1]
	v_rcp_f64_e32 v[6:7], v[4:5]
	v_fma_f64 v[8:9], -v[4:5], v[6:7], 1.0
	v_fmac_f64_e32 v[6:7], v[6:7], v[8:9]
	v_fma_f64 v[8:9], -v[4:5], v[6:7], 1.0
	v_fmac_f64_e32 v[6:7], v[6:7], v[8:9]
	v_div_scale_f64 v[8:9], vcc, v[0:1], v[2:3], v[0:1]
	v_mul_f64 v[10:11], v[8:9], v[6:7]
	v_fma_f64 v[4:5], -v[4:5], v[10:11], v[8:9]
	s_nop 1
	v_div_fmas_f64 v[4:5], v[4:5], v[6:7], v[10:11]
	v_div_fixup_f64 v[0:1], v[4:5], v[2:3], v[0:1]
.LBB8_61:
	s_or_b64 exec, exec, s[10:11]
.LBB8_62:
	s_or_b64 exec, exec, s[8:9]
.LBB8_63:
	s_or_b64 exec, exec, s[6:7]
	s_or_b64 exec, exec, s[4:5]
	s_setpc_b64 s[30:31]
.LBB8_64:
	v_mov_b32_e32 v2, 28
	v_cmp_gt_i16_sdwa s[8:9], v3, v2 src0_sel:BYTE_0 src1_sel:DWORD
	s_mov_b64 s[14:15], 0
                                        ; implicit-def: $vgpr4_vgpr5
	s_and_saveexec_b64 s[16:17], s[8:9]
	s_xor_b64 s[8:9], exec, s[16:17]
	s_cbranch_execz .LBB8_80
; %bb.65:
	v_mov_b32_e32 v2, 43
	v_cmp_gt_i16_sdwa s[12:13], v3, v2 src0_sel:BYTE_0 src1_sel:DWORD
	s_mov_b64 s[16:17], 0
	s_mov_b64 s[18:19], 0
                                        ; implicit-def: $vgpr4_vgpr5
	s_and_saveexec_b64 s[14:15], s[12:13]
	s_xor_b64 s[12:13], exec, s[14:15]
	s_cbranch_execz .LBB8_75
; %bb.66:
	v_mov_b32_e32 v2, 45
	v_cmp_gt_i16_sdwa s[18:19], v3, v2 src0_sel:BYTE_0 src1_sel:DWORD
	s_mov_b64 s[14:15], 0
                                        ; implicit-def: $vgpr4_vgpr5
	s_and_saveexec_b64 s[20:21], s[18:19]
	s_xor_b64 s[18:19], exec, s[20:21]
	s_cbranch_execz .LBB8_70
; %bb.67:
	v_mov_b32_e32 v2, 46
	v_cmp_eq_u16_sdwa s[22:23], v3, v2 src0_sel:BYTE_0 src1_sel:DWORD
	s_mov_b64 s[20:21], -1
                                        ; implicit-def: $vgpr4_vgpr5
	s_and_saveexec_b64 s[16:17], s[22:23]
	s_cbranch_execz .LBB8_69
; %bb.68:
	flat_load_dword v2, v[0:1]
	s_mov_b64 s[14:15], exec
	s_xor_b64 s[20:21], exec, -1
	s_waitcnt vmcnt(0) lgkmcnt(0)
	v_lshlrev_b32_e32 v2, 16, v2
	v_cvt_f64_f32_e32 v[4:5], v2
.LBB8_69:
	s_or_b64 exec, exec, s[16:17]
	s_and_b64 s[16:17], s[14:15], exec
	s_and_b64 s[14:15], s[20:21], exec
                                        ; implicit-def: $vgpr3
.LBB8_70:
	s_andn2_saveexec_b64 s[18:19], s[18:19]
	s_cbranch_execz .LBB8_74
; %bb.71:
	v_mov_b32_e32 v2, 44
	v_cmp_eq_u16_sdwa s[26:27], v3, v2 src0_sel:BYTE_0 src1_sel:DWORD
	s_mov_b64 s[24:25], -1
	s_mov_b64 s[22:23], s[16:17]
                                        ; implicit-def: $vgpr4_vgpr5
	s_and_saveexec_b64 s[20:21], s[26:27]
	s_cbranch_execz .LBB8_73
; %bb.72:
	flat_load_ubyte v4, v[0:1]
	s_movk_i32 s24, 0xff
	v_bfrev_b32_e32 v5, 4
	v_mov_b32_e32 v6, 0x7ff80000
	v_bfrev_b32_e32 v7, 28
	s_or_b64 s[22:23], s[16:17], exec
	s_waitcnt vmcnt(0) lgkmcnt(0)
	v_lshlrev_b32_e32 v2, 23, v4
	v_cvt_f64_f32_e32 v[2:3], v2
	v_cmp_ne_u32_e32 vcc, s24, v4
	v_cndmask_b32_e32 v2, v5, v2, vcc
	v_cndmask_b32_e32 v3, v6, v3, vcc
	v_cmp_ne_u32_e32 vcc, 0, v4
	v_cndmask_b32_e32 v5, v7, v3, vcc
	v_cndmask_b32_e32 v4, 0, v2, vcc
	s_xor_b64 s[24:25], exec, -1
.LBB8_73:
	s_or_b64 exec, exec, s[20:21]
	s_andn2_b64 s[16:17], s[16:17], exec
	s_and_b64 s[20:21], s[22:23], exec
	s_or_b64 s[16:17], s[16:17], s[20:21]
	s_andn2_b64 s[14:15], s[14:15], exec
	s_and_b64 s[20:21], s[24:25], exec
	s_or_b64 s[14:15], s[14:15], s[20:21]
.LBB8_74:
	s_or_b64 exec, exec, s[18:19]
	s_and_b64 s[18:19], s[16:17], exec
	s_and_b64 s[16:17], s[14:15], exec
                                        ; implicit-def: $vgpr3
.LBB8_75:
	s_andn2_saveexec_b64 s[12:13], s[12:13]
	s_cbranch_execz .LBB8_79
; %bb.76:
	v_mov_b32_e32 v2, 29
	v_cmp_eq_u16_sdwa s[24:25], v3, v2 src0_sel:BYTE_0 src1_sel:DWORD
	s_mov_b64 s[14:15], -1
	s_mov_b64 s[20:21], s[18:19]
                                        ; implicit-def: $vgpr4_vgpr5
	s_and_saveexec_b64 s[22:23], s[24:25]
	s_cbranch_execz .LBB8_78
; %bb.77:
	flat_load_dwordx2 v[2:3], v[0:1]
	s_or_b64 s[20:21], s[18:19], exec
	s_xor_b64 s[14:15], exec, -1
	s_waitcnt vmcnt(0) lgkmcnt(0)
	v_cvt_f64_u32_e32 v[4:5], v3
	v_cvt_f64_u32_e32 v[2:3], v2
	v_ldexp_f64 v[4:5], v[4:5], 32
	v_add_f64 v[4:5], v[4:5], v[2:3]
.LBB8_78:
	s_or_b64 exec, exec, s[22:23]
	s_andn2_b64 s[18:19], s[18:19], exec
	s_and_b64 s[20:21], s[20:21], exec
	s_andn2_b64 s[16:17], s[16:17], exec
	s_and_b64 s[14:15], s[14:15], exec
	s_or_b64 s[18:19], s[18:19], s[20:21]
	s_or_b64 s[16:17], s[16:17], s[14:15]
.LBB8_79:
	s_or_b64 exec, exec, s[12:13]
	s_and_b64 s[14:15], s[18:19], exec
	s_and_b64 s[12:13], s[16:17], exec
                                        ; implicit-def: $vgpr3
.LBB8_80:
	s_andn2_saveexec_b64 s[8:9], s[8:9]
	s_cbranch_execz .LBB8_94
; %bb.81:
	v_mov_b32_e32 v2, 26
	v_cmp_gt_i16_sdwa s[16:17], v3, v2 src0_sel:BYTE_0 src1_sel:DWORD
                                        ; implicit-def: $vgpr4_vgpr5
	s_and_saveexec_b64 s[18:19], s[16:17]
	s_xor_b64 s[16:17], exec, s[18:19]
	s_cbranch_execz .LBB8_87
; %bb.82:
	v_mov_b32_e32 v2, 27
	v_cmp_gt_i16_sdwa s[18:19], v3, v2 src0_sel:BYTE_0 src1_sel:DWORD
                                        ; implicit-def: $vgpr4_vgpr5
	s_and_saveexec_b64 s[20:21], s[18:19]
	s_xor_b64 s[18:19], exec, s[20:21]
	s_cbranch_execz .LBB8_84
; %bb.83:
	flat_load_dword v2, v[0:1]
	s_waitcnt vmcnt(0) lgkmcnt(0)
	v_cvt_f64_u32_e32 v[4:5], v2
.LBB8_84:
	s_andn2_saveexec_b64 s[18:19], s[18:19]
	s_cbranch_execz .LBB8_86
; %bb.85:
	flat_load_ushort v2, v[0:1]
	s_waitcnt vmcnt(0) lgkmcnt(0)
	v_cvt_f64_u32_e32 v[4:5], v2
.LBB8_86:
	s_or_b64 exec, exec, s[18:19]
.LBB8_87:
	s_andn2_saveexec_b64 s[16:17], s[16:17]
	s_cbranch_execz .LBB8_93
; %bb.88:
	flat_load_ubyte v2, v[0:1]
	s_movk_i32 s18, 0x7f
                                        ; implicit-def: $sgpr20_sgpr21
	s_waitcnt vmcnt(0) lgkmcnt(0)
	v_cmp_lt_i16_e32 vcc, s18, v2
	s_mov_b64 s[18:19], 0
	s_and_saveexec_b64 s[22:23], vcc
	s_xor_b64 s[22:23], exec, s[22:23]
	s_cbranch_execnz .LBB8_119
; %bb.89:
	s_or_saveexec_b64 s[22:23], s[22:23]
	v_pk_mov_b32 v[4:5], s[20:21], s[20:21] op_sel:[0,1]
	s_xor_b64 exec, exec, s[22:23]
	s_cbranch_execnz .LBB8_122
.LBB8_90:
	s_or_b64 exec, exec, s[22:23]
	s_and_saveexec_b64 s[20:21], s[18:19]
	s_cbranch_execz .LBB8_92
.LBB8_91:
	v_lshlrev_b32_e32 v3, 24, v2
	v_and_b32_e32 v2, 0xffff, v2
	v_and_b32_e32 v4, 7, v2
	v_ffbh_u32_e32 v6, v4
	v_min_u32_e32 v6, 32, v6
	v_subrev_u32_e32 v7, 28, v6
	v_bfe_u32 v5, v2, 3, 4
	v_lshlrev_b32_e32 v2, v7, v2
	v_sub_u32_e32 v6, 29, v6
	v_and_b32_e32 v2, 7, v2
	v_cmp_eq_u32_e32 vcc, 0, v5
	v_cndmask_b32_e32 v5, v5, v6, vcc
	v_cndmask_b32_e32 v2, v4, v2, vcc
	v_mov_b32_e32 v4, 0x3b800000
	v_lshlrev_b32_e32 v2, 20, v2
	v_and_b32_e32 v3, 0x80000000, v3
	v_lshl_add_u32 v4, v5, 23, v4
	v_or3_b32 v2, v3, v4, v2
	v_cvt_f64_f32_e32 v[4:5], v2
.LBB8_92:
	s_or_b64 exec, exec, s[20:21]
.LBB8_93:
	s_or_b64 exec, exec, s[16:17]
	s_or_b64 s[14:15], s[14:15], exec
.LBB8_94:
	s_or_b64 exec, exec, s[8:9]
	s_and_b64 s[8:9], s[14:15], exec
	s_and_b64 s[12:13], s[12:13], exec
                                        ; implicit-def: $vgpr3
	s_andn2_saveexec_b64 s[10:11], s[10:11]
	s_cbranch_execz .LBB8_6
.LBB8_95:
	v_mov_b32_e32 v2, 22
	v_cmp_gt_i16_sdwa s[6:7], v3, v2 src0_sel:BYTE_0 src1_sel:DWORD
	s_mov_b64 s[14:15], s[8:9]
                                        ; implicit-def: $vgpr4_vgpr5
	s_and_saveexec_b64 s[16:17], s[6:7]
	s_xor_b64 s[6:7], exec, s[16:17]
	s_cbranch_execz .LBB8_109
; %bb.96:
	v_mov_b32_e32 v2, 23
	v_cmp_gt_i16_sdwa s[14:15], v3, v2 src0_sel:BYTE_0 src1_sel:DWORD
                                        ; implicit-def: $vgpr4_vgpr5
	s_and_saveexec_b64 s[16:17], s[14:15]
	s_xor_b64 s[14:15], exec, s[16:17]
	s_cbranch_execz .LBB8_106
; %bb.97:
	v_mov_b32_e32 v2, 24
	v_cmp_gt_i16_sdwa s[16:17], v3, v2 src0_sel:BYTE_0 src1_sel:DWORD
                                        ; implicit-def: $vgpr4_vgpr5
	s_and_saveexec_b64 s[18:19], s[16:17]
	s_xor_b64 s[16:17], exec, s[18:19]
	s_cbranch_execz .LBB8_103
; %bb.98:
	flat_load_ubyte v2, v[0:1]
	s_movk_i32 s18, 0x7f
                                        ; implicit-def: $sgpr20_sgpr21
	s_waitcnt vmcnt(0) lgkmcnt(0)
	v_cmp_lt_i16_e32 vcc, s18, v2
	s_mov_b64 s[18:19], 0
	s_and_saveexec_b64 s[22:23], vcc
	s_xor_b64 s[22:23], exec, s[22:23]
	s_cbranch_execnz .LBB8_123
; %bb.99:
	s_or_saveexec_b64 s[22:23], s[22:23]
	v_pk_mov_b32 v[4:5], s[20:21], s[20:21] op_sel:[0,1]
	s_xor_b64 exec, exec, s[22:23]
	s_cbranch_execnz .LBB8_126
.LBB8_100:
	s_or_b64 exec, exec, s[22:23]
	s_and_saveexec_b64 s[20:21], s[18:19]
	s_cbranch_execz .LBB8_102
.LBB8_101:
	v_lshlrev_b32_e32 v3, 24, v2
	v_and_b32_e32 v2, 0xffff, v2
	v_and_b32_e32 v4, 3, v2
	v_ffbh_u32_e32 v6, v4
	v_min_u32_e32 v6, 32, v6
	v_subrev_u32_e32 v7, 29, v6
	v_bfe_u32 v5, v2, 2, 5
	v_lshlrev_b32_e32 v2, v7, v2
	v_sub_u32_e32 v6, 30, v6
	v_and_b32_e32 v2, 3, v2
	v_cmp_eq_u32_e32 vcc, 0, v5
	v_cndmask_b32_e32 v5, v5, v6, vcc
	v_cndmask_b32_e32 v2, v4, v2, vcc
	v_mov_b32_e32 v4, 0x37800000
	v_lshlrev_b32_e32 v2, 21, v2
	v_and_b32_e32 v3, 0x80000000, v3
	v_lshl_add_u32 v4, v5, 23, v4
	v_or3_b32 v2, v3, v4, v2
	v_cvt_f64_f32_e32 v[4:5], v2
.LBB8_102:
	s_or_b64 exec, exec, s[20:21]
.LBB8_103:
	s_andn2_saveexec_b64 s[16:17], s[16:17]
	s_cbranch_execz .LBB8_105
; %bb.104:
	flat_load_ubyte v2, v[0:1]
	s_mov_b32 s18, 0x7f800000
	s_waitcnt vmcnt(0) lgkmcnt(0)
	v_lshlrev_b32_e32 v2, 24, v2
	v_and_b32_e32 v3, 0x7f000000, v2
	v_ffbh_u32_e32 v4, v3
	v_min_u32_e32 v4, 32, v4
	v_sub_u32_e64 v4, v4, 4 clamp
	v_lshlrev_b32_e32 v6, v4, v3
	v_lshlrev_b32_e32 v4, 23, v4
	v_lshrrev_b32_e32 v6, 4, v6
	v_add_u32_e32 v5, 0x1000000, v3
	v_sub_u32_e32 v4, v6, v4
	v_ashrrev_i32_e32 v5, 8, v5
	v_add_u32_e32 v4, 0x3c000000, v4
	v_and_or_b32 v4, v5, s18, v4
	v_cmp_ne_u32_e32 vcc, 0, v3
	v_cndmask_b32_e32 v3, 0, v4, vcc
	s_brev_b32 s18, 1
	v_and_or_b32 v2, v2, s18, v3
	v_cvt_f64_f32_e32 v[4:5], v2
.LBB8_105:
	s_or_b64 exec, exec, s[16:17]
.LBB8_106:
	s_andn2_saveexec_b64 s[14:15], s[14:15]
	s_cbranch_execz .LBB8_108
; %bb.107:
	flat_load_ubyte v2, v[0:1]
	s_movk_i32 s16, 0x7f00
	s_brev_b32 s17, 16
	s_waitcnt vmcnt(0) lgkmcnt(0)
	v_lshlrev_b16_e32 v3, 8, v2
	v_lshlrev_b32_e32 v2, 25, v2
	v_lshrrev_b32_e32 v4, 4, v2
	v_and_or_b32 v5, v3, s16, 0.5
	v_or_b32_e32 v4, 0x70000000, v4
	v_add_f32_e32 v5, -0.5, v5
	v_mul_f32_e32 v4, 0x7800000, v4
	v_cmp_gt_u32_e32 vcc, s17, v2
	v_bfe_i32 v3, v3, 0, 16
	v_cndmask_b32_e32 v2, v4, v5, vcc
	s_brev_b32 s16, 1
	v_and_or_b32 v2, v3, s16, v2
	v_cvt_f64_f32_e32 v[4:5], v2
.LBB8_108:
	s_or_b64 exec, exec, s[14:15]
	s_or_b64 s[14:15], s[8:9], exec
                                        ; implicit-def: $vgpr3
.LBB8_109:
	s_or_saveexec_b64 s[6:7], s[6:7]
	s_mov_b64 s[18:19], 0
	s_mov_b64 s[16:17], s[12:13]
	s_xor_b64 exec, exec, s[6:7]
	s_cbranch_execz .LBB8_117
; %bb.110:
	v_mov_b32_e32 v2, 14
	v_cmp_gt_i16_sdwa s[20:21], v3, v2 src0_sel:BYTE_0 src1_sel:DWORD
	s_mov_b64 s[16:17], s[12:13]
	s_mov_b64 s[18:19], s[14:15]
                                        ; implicit-def: $vgpr4_vgpr5
	s_and_saveexec_b64 s[22:23], s[20:21]
	s_xor_b64 s[20:21], exec, s[22:23]
	s_cbranch_execz .LBB8_114
; %bb.111:
	v_mov_b32_e32 v2, 15
	v_cmp_eq_u16_sdwa s[24:25], v3, v2 src0_sel:BYTE_0 src1_sel:DWORD
	s_mov_b64 s[16:17], -1
	s_mov_b64 s[18:19], s[14:15]
                                        ; implicit-def: $vgpr4_vgpr5
	s_and_saveexec_b64 s[22:23], s[24:25]
	s_cbranch_execz .LBB8_113
; %bb.112:
	flat_load_ushort v2, v[0:1]
	s_or_b64 s[18:19], s[14:15], exec
	s_xor_b64 s[16:17], exec, -1
	s_waitcnt vmcnt(0) lgkmcnt(0)
	v_lshlrev_b32_e32 v2, 16, v2
	v_cvt_f64_f32_e32 v[4:5], v2
.LBB8_113:
	s_or_b64 exec, exec, s[22:23]
	s_andn2_b64 s[22:23], s[14:15], exec
	s_and_b64 s[18:19], s[18:19], exec
	s_or_b64 s[18:19], s[22:23], s[18:19]
	s_andn2_b64 s[22:23], s[12:13], exec
	s_and_b64 s[16:17], s[16:17], exec
	s_or_b64 s[16:17], s[22:23], s[16:17]
                                        ; implicit-def: $vgpr3
.LBB8_114:
	s_or_saveexec_b64 s[20:21], s[20:21]
	s_mov_b64 s[22:23], 0
	s_xor_b64 exec, exec, s[20:21]
; %bb.115:
	v_mov_b32_e32 v2, 11
	v_cmp_ne_u16_sdwa s[24:25], v3, v2 src0_sel:BYTE_0 src1_sel:DWORD
	s_andn2_b64 s[16:17], s[16:17], exec
	s_and_b64 s[24:25], s[24:25], exec
	s_mov_b64 s[22:23], exec
	s_or_b64 s[16:17], s[16:17], s[24:25]
                                        ; implicit-def: $vgpr4_vgpr5
; %bb.116:
	s_or_b64 exec, exec, s[20:21]
	s_andn2_b64 s[14:15], s[14:15], exec
	s_and_b64 s[18:19], s[18:19], exec
	s_andn2_b64 s[20:21], s[12:13], exec
	s_and_b64 s[16:17], s[16:17], exec
	s_or_b64 s[14:15], s[14:15], s[18:19]
	s_and_b64 s[18:19], s[22:23], exec
	s_or_b64 s[16:17], s[20:21], s[16:17]
.LBB8_117:
	s_or_b64 exec, exec, s[6:7]
	s_andn2_b64 s[6:7], s[8:9], exec
	s_and_b64 s[8:9], s[14:15], exec
	s_andn2_b64 s[12:13], s[12:13], exec
	s_and_b64 s[14:15], s[16:17], exec
	s_or_b64 s[8:9], s[6:7], s[8:9]
	s_and_b64 s[6:7], s[18:19], exec
	s_or_b64 s[12:13], s[12:13], s[14:15]
	s_or_b64 exec, exec, s[10:11]
	s_and_saveexec_b64 s[10:11], s[12:13]
	s_cbranch_execz .LBB8_7
.LBB8_118:
	s_trap 2
	; divergent unreachable
	s_andn2_b64 s[6:7], s[6:7], exec
                                        ; implicit-def: $vgpr4_vgpr5
	s_or_b64 exec, exec, s[10:11]
	s_and_saveexec_b64 s[10:11], s[6:7]
	s_xor_b64 s[6:7], exec, s[10:11]
	s_cbranch_execnz .LBB8_8
	s_branch .LBB8_9
.LBB8_119:
	s_movk_i32 s18, 0x80
	v_cmp_eq_u16_e32 vcc, s18, v2
	s_mov_b64 s[24:25], -1
                                        ; implicit-def: $sgpr20_sgpr21
	s_and_saveexec_b64 s[18:19], vcc
; %bb.120:
	s_mov_b32 s21, 0x7ff80000
	s_brev_b32 s20, 4
	s_xor_b64 s[24:25], exec, -1
; %bb.121:
	s_or_b64 exec, exec, s[18:19]
	s_and_b64 s[18:19], s[24:25], exec
	s_or_saveexec_b64 s[22:23], s[22:23]
	v_pk_mov_b32 v[4:5], s[20:21], s[20:21] op_sel:[0,1]
	s_xor_b64 exec, exec, s[22:23]
	s_cbranch_execz .LBB8_90
.LBB8_122:
	v_cmp_ne_u16_e32 vcc, 0, v2
	s_andn2_b64 s[18:19], s[18:19], exec
	s_and_b64 s[20:21], vcc, exec
	v_pk_mov_b32 v[4:5], 0, 0
	s_or_b64 s[18:19], s[18:19], s[20:21]
	s_or_b64 exec, exec, s[22:23]
	s_and_saveexec_b64 s[20:21], s[18:19]
	s_cbranch_execnz .LBB8_91
	s_branch .LBB8_92
.LBB8_123:
	s_movk_i32 s18, 0x80
	v_cmp_eq_u16_e32 vcc, s18, v2
	s_mov_b64 s[24:25], -1
                                        ; implicit-def: $sgpr20_sgpr21
	s_and_saveexec_b64 s[18:19], vcc
; %bb.124:
	s_mov_b32 s21, 0x7ff80000
	s_brev_b32 s20, 4
	s_xor_b64 s[24:25], exec, -1
; %bb.125:
	s_or_b64 exec, exec, s[18:19]
	s_and_b64 s[18:19], s[24:25], exec
	s_or_saveexec_b64 s[22:23], s[22:23]
	v_pk_mov_b32 v[4:5], s[20:21], s[20:21] op_sel:[0,1]
	s_xor_b64 exec, exec, s[22:23]
	s_cbranch_execz .LBB8_100
.LBB8_126:
	v_cmp_ne_u16_e32 vcc, 0, v2
	s_andn2_b64 s[18:19], s[18:19], exec
	s_and_b64 s[20:21], vcc, exec
	v_pk_mov_b32 v[4:5], 0, 0
	s_or_b64 s[18:19], s[18:19], s[20:21]
	s_or_b64 exec, exec, s[22:23]
	s_and_saveexec_b64 s[20:21], s[18:19]
	s_cbranch_execnz .LBB8_101
	s_branch .LBB8_102
.Lfunc_end8:
	.size	_ZN2at6native6invokeIZZZNS0_12_GLOBAL__N_130modified_bessel_k0_kernel_cudaERNS_18TensorIteratorBaseEENKUlvE_clEvENKUlvE_clEvEUldE_i15function_traitsIS7_EEENT1_11result_typeERKT_PrKPcPKT0_PKN3c1010ScalarTypeEi, .Lfunc_end8-_ZN2at6native6invokeIZZZNS0_12_GLOBAL__N_130modified_bessel_k0_kernel_cudaERNS_18TensorIteratorBaseEENKUlvE_clEvENKUlvE_clEvEUldE_i15function_traitsIS7_EEENT1_11result_typeERKT_PrKPcPKT0_PKN3c1010ScalarTypeEi
                                        ; -- End function
	.section	.AMDGPU.csdata,"",@progbits
; Function info:
; codeLenInByte = 7868
; NumSgprs: 36
; NumVgprs: 21
; NumAgprs: 0
; TotalNumVgprs: 21
; ScratchSize: 0
; MemoryBound: 1
	.section	.text._ZN2at6native32elementwise_kernel_manual_unrollILi128ELi4EZNS0_15gpu_kernel_implIZZZNS0_12_GLOBAL__N_130modified_bessel_k0_kernel_cudaERNS_18TensorIteratorBaseEENKUlvE_clEvENKUlvE_clEvEUldE_EEvS5_RKT_EUlibE_EEviT1_,"axG",@progbits,_ZN2at6native32elementwise_kernel_manual_unrollILi128ELi4EZNS0_15gpu_kernel_implIZZZNS0_12_GLOBAL__N_130modified_bessel_k0_kernel_cudaERNS_18TensorIteratorBaseEENKUlvE_clEvENKUlvE_clEvEUldE_EEvS5_RKT_EUlibE_EEviT1_,comdat
	.globl	_ZN2at6native32elementwise_kernel_manual_unrollILi128ELi4EZNS0_15gpu_kernel_implIZZZNS0_12_GLOBAL__N_130modified_bessel_k0_kernel_cudaERNS_18TensorIteratorBaseEENKUlvE_clEvENKUlvE_clEvEUldE_EEvS5_RKT_EUlibE_EEviT1_ ; -- Begin function _ZN2at6native32elementwise_kernel_manual_unrollILi128ELi4EZNS0_15gpu_kernel_implIZZZNS0_12_GLOBAL__N_130modified_bessel_k0_kernel_cudaERNS_18TensorIteratorBaseEENKUlvE_clEvENKUlvE_clEvEUldE_EEvS5_RKT_EUlibE_EEviT1_
	.p2align	8
	.type	_ZN2at6native32elementwise_kernel_manual_unrollILi128ELi4EZNS0_15gpu_kernel_implIZZZNS0_12_GLOBAL__N_130modified_bessel_k0_kernel_cudaERNS_18TensorIteratorBaseEENKUlvE_clEvENKUlvE_clEvEUldE_EEvS5_RKT_EUlibE_EEviT1_,@function
_ZN2at6native32elementwise_kernel_manual_unrollILi128ELi4EZNS0_15gpu_kernel_implIZZZNS0_12_GLOBAL__N_130modified_bessel_k0_kernel_cudaERNS_18TensorIteratorBaseEENKUlvE_clEvENKUlvE_clEvEUldE_EEvS5_RKT_EUlibE_EEviT1_: ; @_ZN2at6native32elementwise_kernel_manual_unrollILi128ELi4EZNS0_15gpu_kernel_implIZZZNS0_12_GLOBAL__N_130modified_bessel_k0_kernel_cudaERNS_18TensorIteratorBaseEENKUlvE_clEvENKUlvE_clEvEUldE_EEvS5_RKT_EUlibE_EEviT1_
; %bb.0:
	v_mov_b32_e32 v1, 0
	global_load_ushort v30, v1, s[4:5] offset:33
	s_load_dwordx4 s[36:39], s[4:5], 0x8
	s_load_dwordx2 s[28:29], s[4:5], 0x18
	s_load_dword s33, s[4:5], 0x0
	s_add_u32 flat_scratch_lo, s6, s9
	s_addc_u32 flat_scratch_hi, s7, 0
	v_lshl_or_b32 v21, s8, 9, v0
	s_add_u32 s0, s0, s9
	v_or_b32_e32 v29, 0x180, v21
	s_addc_u32 s1, s1, 0
	s_mov_b64 s[34:35], 0
	s_waitcnt lgkmcnt(0)
	v_cmp_le_i32_e32 vcc, s33, v29
	s_mov_b64 s[42:43], 0
	s_mov_b32 s32, 0
	s_waitcnt vmcnt(0)
	v_lshrrev_b16_e32 v28, 8, v30
	s_and_saveexec_b64 s[4:5], vcc
	s_xor_b64 s[40:41], exec, s[4:5]
	s_cbranch_execz .LBB9_508
; %bb.1:
	v_cmp_gt_i32_e32 vcc, s33, v21
	s_mov_b64 s[4:5], -1
	s_mov_b64 s[48:49], 0
	s_and_saveexec_b64 s[44:45], vcc
                                        ; implicit-def: $vgpr2_vgpr3
	s_cbranch_execz .LBB9_124
; %bb.2:
	v_mov_b32_e32 v0, s38
	v_mov_b32_e32 v1, s39
	;; [unrolled: 1-line block ×5, first 2 shown]
	s_getpc_b64 s[4:5]
	s_add_u32 s4, s4, _ZN2at6native6invokeIZZZNS0_12_GLOBAL__N_130modified_bessel_k0_kernel_cudaERNS_18TensorIteratorBaseEENKUlvE_clEvENKUlvE_clEvEUldE_i15function_traitsIS7_EEENT1_11result_typeERKT_PrKPcPKT0_PKN3c1010ScalarTypeEi@rel32@lo+4
	s_addc_u32 s5, s5, _ZN2at6native6invokeIZZZNS0_12_GLOBAL__N_130modified_bessel_k0_kernel_cudaERNS_18TensorIteratorBaseEENKUlvE_clEvENKUlvE_clEvEUldE_i15function_traitsIS7_EEENT1_11result_typeERKT_PrKPcPKT0_PKN3c1010ScalarTypeEi@rel32@hi+12
	s_swappc_b64 s[30:31], s[4:5]
	v_mul_lo_u32 v2, v21, s28
	v_ashrrev_i32_e32 v3, 31, v2
	v_mov_b32_e32 v5, s37
	v_add_co_u32_e32 v4, vcc, s36, v2
	v_mov_b32_e32 v2, 11
	v_addc_co_u32_e32 v5, vcc, v5, v3, vcc
	v_cmp_lt_i16_sdwa s[4:5], v30, v2 src0_sel:BYTE_0 src1_sel:DWORD
	s_and_b64 vcc, exec, s[4:5]
	s_cbranch_vccnz .LBB9_9
; %bb.3:
	v_mov_b32_e32 v2, 25
	v_cmp_gt_i16_sdwa s[4:5], v30, v2 src0_sel:BYTE_0 src1_sel:DWORD
	s_and_b64 vcc, exec, s[4:5]
	s_cbranch_vccz .LBB9_12
; %bb.4:
	v_mov_b32_e32 v2, 28
	v_cmp_gt_i16_sdwa s[4:5], v30, v2 src0_sel:BYTE_0 src1_sel:DWORD
	s_and_b64 vcc, exec, s[4:5]
	s_cbranch_vccz .LBB9_13
	;; [unrolled: 5-line block ×4, first 2 shown]
; %bb.7:
	v_mov_b32_e32 v2, 46
	v_cmp_eq_u16_sdwa s[6:7], v30, v2 src0_sel:BYTE_0 src1_sel:DWORD
	s_mov_b64 s[8:9], 0
	s_mov_b64 s[4:5], -1
	s_and_b64 vcc, exec, s[6:7]
	s_mov_b64 s[6:7], 0
	s_cbranch_vccz .LBB9_16
; %bb.8:
	v_cvt_f32_f64_e32 v2, v[0:1]
	v_bfe_u32 v3, v2, 16, 1
	s_movk_i32 s4, 0x7fff
	v_add3_u32 v3, v2, v3, s4
	v_lshrrev_b32_e32 v3, 16, v3
	v_mov_b32_e32 v6, 0x7fc0
	v_cmp_o_f32_e32 vcc, v2, v2
	v_cndmask_b32_e32 v2, v6, v3, vcc
	global_store_dword v[4:5], v2, off
	s_mov_b64 s[6:7], -1
	s_mov_b64 s[4:5], 0
	s_branch .LBB9_16
.LBB9_9:
	s_mov_b64 s[4:5], 0
	s_mov_b64 s[6:7], 0
	s_cbranch_execnz .LBB9_84
.LBB9_10:
	s_andn2_b64 vcc, exec, s[6:7]
	s_cbranch_vccnz .LBB9_122
.LBB9_11:
	v_add_u32_e32 v21, 0x80, v21
	s_mov_b64 s[6:7], -1
	s_branch .LBB9_123
.LBB9_12:
	s_mov_b64 s[4:5], 0
	s_mov_b64 s[6:7], 0
	s_cbranch_execnz .LBB9_43
	s_branch .LBB9_83
.LBB9_13:
	s_mov_b64 s[8:9], -1
	s_mov_b64 s[4:5], 0
	s_mov_b64 s[6:7], 0
	s_branch .LBB9_26
.LBB9_14:
	s_mov_b64 s[8:9], -1
	s_mov_b64 s[4:5], 0
	s_mov_b64 s[6:7], 0
	s_branch .LBB9_22
.LBB9_15:
	s_mov_b64 s[8:9], -1
	s_mov_b64 s[4:5], 0
	s_mov_b64 s[6:7], 0
.LBB9_16:
	s_and_b64 vcc, exec, s[8:9]
	s_cbranch_vccz .LBB9_21
; %bb.17:
	v_mov_b32_e32 v2, 44
	v_cmp_eq_u16_sdwa s[8:9], v30, v2 src0_sel:BYTE_0 src1_sel:DWORD
	s_mov_b64 s[4:5], -1
	s_and_b64 vcc, exec, s[8:9]
	s_cbranch_vccz .LBB9_21
; %bb.18:
	v_cvt_f32_f64_e32 v2, v[0:1]
	v_bfe_u32 v3, v2, 23, 8
	s_movk_i32 s4, 0xff
	v_cmp_ne_u32_e32 vcc, s4, v3
	v_mov_b32_e32 v6, 0xff
	s_and_saveexec_b64 s[6:7], vcc
; %bb.19:
	s_mov_b32 s4, 0x3fffff
	v_lshrrev_b32_e32 v6, 23, v2
	v_and_b32_e32 v7, 0x400000, v2
	v_and_or_b32 v2, v2, s4, v3
	v_cmp_ne_u32_e32 vcc, 0, v7
	v_cmp_ne_u32_e64 s[4:5], 0, v2
	s_and_b64 s[4:5], vcc, s[4:5]
	v_cndmask_b32_e64 v2, 0, 1, s[4:5]
	v_add_u32_e32 v6, v6, v2
; %bb.20:
	s_or_b64 exec, exec, s[6:7]
	s_mov_b64 s[6:7], -1
	s_mov_b64 s[4:5], 0
	global_store_byte v[4:5], v6, off
.LBB9_21:
	s_mov_b64 s[8:9], 0
.LBB9_22:
	s_and_b64 vcc, exec, s[8:9]
	s_cbranch_vccz .LBB9_25
; %bb.23:
	v_mov_b32_e32 v2, 29
	v_cmp_eq_u16_sdwa s[8:9], v30, v2 src0_sel:BYTE_0 src1_sel:DWORD
	s_mov_b64 s[4:5], -1
	s_and_b64 vcc, exec, s[8:9]
	s_cbranch_vccz .LBB9_25
; %bb.24:
	v_trunc_f64_e32 v[2:3], v[0:1]
	s_movk_i32 s4, 0xffe0
	v_ldexp_f64 v[6:7], v[2:3], s4
	v_floor_f64_e32 v[6:7], v[6:7]
	v_fmac_f64_e32 v[2:3], 0xc1f00000, v[6:7]
	v_cvt_u32_f64_e32 v9, v[6:7]
	v_cvt_u32_f64_e32 v8, v[2:3]
	global_store_dwordx2 v[4:5], v[8:9], off
	s_mov_b64 s[6:7], -1
	s_mov_b64 s[4:5], 0
.LBB9_25:
	s_mov_b64 s[8:9], 0
.LBB9_26:
	s_and_b64 vcc, exec, s[8:9]
	s_cbranch_vccz .LBB9_42
; %bb.27:
	v_mov_b32_e32 v2, 27
	v_cmp_lt_i16_sdwa s[8:9], v30, v2 src0_sel:BYTE_0 src1_sel:DWORD
	s_mov_b64 s[6:7], -1
	s_and_b64 vcc, exec, s[8:9]
	s_cbranch_vccnz .LBB9_33
; %bb.28:
	v_cmp_gt_i16_sdwa s[8:9], v30, v2 src0_sel:BYTE_0 src1_sel:DWORD
	s_and_b64 vcc, exec, s[8:9]
	v_cvt_u32_f64_e32 v2, v[0:1]
	s_cbranch_vccz .LBB9_30
; %bb.29:
	s_mov_b64 s[6:7], 0
	global_store_dword v[4:5], v2, off
.LBB9_30:
	s_andn2_b64 vcc, exec, s[6:7]
	s_cbranch_vccnz .LBB9_32
; %bb.31:
	global_store_short v[4:5], v2, off
.LBB9_32:
	s_mov_b64 s[6:7], 0
.LBB9_33:
	s_andn2_b64 vcc, exec, s[6:7]
	s_cbranch_vccnz .LBB9_41
; %bb.34:
	v_cvt_f32_f64_e32 v2, v[0:1]
	v_and_b32_e32 v3, 0x7fffffff, v2
	s_mov_b32 s6, 0x43800000
	v_cmp_gt_u32_e32 vcc, s6, v3
	v_mov_b32_e32 v6, 0x80
	s_and_saveexec_b64 s[6:7], vcc
	s_cbranch_execz .LBB9_40
; %bb.35:
	s_mov_b32 s8, 0x3bffffff
	v_cmp_lt_u32_e32 vcc, s8, v3
	s_mov_b64 s[8:9], 0
                                        ; implicit-def: $vgpr3
	s_and_saveexec_b64 s[10:11], vcc
	s_xor_b64 s[10:11], exec, s[10:11]
	s_cbranch_execz .LBB9_141
; %bb.36:
	v_bfe_u32 v3, v2, 20, 1
	s_mov_b32 s12, 0x487ffff
	v_add3_u32 v3, v2, v3, s12
	s_mov_b64 s[8:9], exec
	v_lshrrev_b32_e32 v3, 20, v3
	s_or_saveexec_b64 s[10:11], s[10:11]
                                        ; implicit-def: $sgpr12
	s_xor_b64 exec, exec, s[10:11]
	s_cbranch_execnz .LBB9_142
.LBB9_37:
	s_or_b64 exec, exec, s[10:11]
	v_mov_b32_e32 v6, s12
	s_and_saveexec_b64 s[10:11], s[8:9]
.LBB9_38:
	v_lshrrev_b32_e32 v2, 24, v2
	s_movk_i32 s8, 0x80
	v_and_or_b32 v6, v2, s8, v3
.LBB9_39:
	s_or_b64 exec, exec, s[10:11]
.LBB9_40:
	s_or_b64 exec, exec, s[6:7]
	global_store_byte v[4:5], v6, off
.LBB9_41:
	s_mov_b64 s[6:7], -1
.LBB9_42:
	s_branch .LBB9_83
.LBB9_43:
	v_mov_b32_e32 v2, 22
	v_cmp_gt_i16_sdwa s[10:11], v30, v2 src0_sel:BYTE_0 src1_sel:DWORD
	s_mov_b64 s[8:9], -1
	s_and_b64 vcc, exec, s[10:11]
	s_cbranch_vccz .LBB9_75
; %bb.44:
	v_mov_b32_e32 v2, 24
	v_cmp_lt_i16_sdwa s[8:9], v30, v2 src0_sel:BYTE_0 src1_sel:DWORD
	s_mov_b64 s[6:7], -1
	s_and_b64 vcc, exec, s[8:9]
	s_cbranch_vccnz .LBB9_64
; %bb.45:
	v_cmp_gt_i16_sdwa s[8:9], v30, v2 src0_sel:BYTE_0 src1_sel:DWORD
	s_and_b64 vcc, exec, s[8:9]
	s_cbranch_vccz .LBB9_53
; %bb.46:
	v_cvt_f32_f64_e32 v2, v[0:1]
	v_and_b32_e32 v3, 0x7fffffff, v2
	s_mov_b32 s6, 0x47800000
	v_cmp_gt_u32_e32 vcc, s6, v3
	v_mov_b32_e32 v6, 0x80
	s_and_saveexec_b64 s[6:7], vcc
	s_cbranch_execz .LBB9_52
; %bb.47:
	s_mov_b32 s8, 0x37ffffff
	v_cmp_lt_u32_e32 vcc, s8, v3
	s_mov_b64 s[8:9], 0
                                        ; implicit-def: $vgpr3
	s_and_saveexec_b64 s[10:11], vcc
	s_xor_b64 s[10:11], exec, s[10:11]
	s_cbranch_execz .LBB9_144
; %bb.48:
	v_bfe_u32 v3, v2, 21, 1
	s_mov_b32 s12, 0x88fffff
	v_add3_u32 v3, v2, v3, s12
	s_mov_b64 s[8:9], exec
	v_lshrrev_b32_e32 v3, 21, v3
	s_or_saveexec_b64 s[10:11], s[10:11]
                                        ; implicit-def: $sgpr12
	s_xor_b64 exec, exec, s[10:11]
	s_cbranch_execnz .LBB9_145
.LBB9_49:
	s_or_b64 exec, exec, s[10:11]
	v_mov_b32_e32 v6, s12
	s_and_saveexec_b64 s[10:11], s[8:9]
.LBB9_50:
	v_lshrrev_b32_e32 v2, 24, v2
	s_movk_i32 s8, 0x80
	v_and_or_b32 v6, v2, s8, v3
.LBB9_51:
	s_or_b64 exec, exec, s[10:11]
.LBB9_52:
	s_or_b64 exec, exec, s[6:7]
	s_mov_b64 s[6:7], 0
	global_store_byte v[4:5], v6, off
.LBB9_53:
	s_and_b64 vcc, exec, s[6:7]
	s_cbranch_vccz .LBB9_63
; %bb.54:
	v_cvt_f32_f64_e32 v2, v[0:1]
	v_and_b32_e32 v6, 0x7fffffff, v2
	s_mov_b32 s6, 0x43f00000
	v_cmp_gt_u32_e32 vcc, s6, v6
                                        ; implicit-def: $vgpr3
	s_and_saveexec_b64 s[6:7], vcc
	s_xor_b64 s[6:7], exec, s[6:7]
	s_cbranch_execz .LBB9_60
; %bb.55:
	s_mov_b32 s8, 0x3c7fffff
	v_cmp_lt_u32_e32 vcc, s8, v6
                                        ; implicit-def: $vgpr3
	s_and_saveexec_b64 s[8:9], vcc
	s_xor_b64 s[8:9], exec, s[8:9]
; %bb.56:
	v_bfe_u32 v3, v2, 20, 1
	s_mov_b32 s10, 0x407ffff
	v_add3_u32 v3, v2, v3, s10
	v_lshrrev_b32_e32 v6, 20, v3
	v_and_b32_e32 v3, 0xff00000, v3
	s_mov_b32 s10, 0x7f00000
	v_mov_b32_e32 v7, 0x7e
	v_cmp_ne_u32_e32 vcc, s10, v3
	v_cndmask_b32_e32 v3, v7, v6, vcc
; %bb.57:
	s_andn2_saveexec_b64 s[8:9], s[8:9]
; %bb.58:
	s_mov_b32 s10, 0x46800000
	v_add_f32_e64 v3, |v2|, s10
; %bb.59:
	s_or_b64 exec, exec, s[8:9]
                                        ; implicit-def: $vgpr6
.LBB9_60:
	s_andn2_saveexec_b64 s[6:7], s[6:7]
; %bb.61:
	s_mov_b32 s8, 0x7f800000
	v_mov_b32_e32 v3, 0x7e
	v_mov_b32_e32 v7, 0x7f
	v_cmp_lt_u32_e32 vcc, s8, v6
	v_cndmask_b32_e32 v3, v3, v7, vcc
; %bb.62:
	s_or_b64 exec, exec, s[6:7]
	v_lshrrev_b32_e32 v2, 24, v2
	s_movk_i32 s6, 0x80
	v_and_or_b32 v2, v2, s6, v3
	global_store_byte v[4:5], v2, off
.LBB9_63:
	s_mov_b64 s[6:7], 0
.LBB9_64:
	s_andn2_b64 vcc, exec, s[6:7]
	s_cbranch_vccnz .LBB9_74
; %bb.65:
	v_cvt_f32_f64_e32 v2, v[0:1]
	v_and_b32_e32 v6, 0x7fffffff, v2
	s_mov_b32 s6, 0x47800000
	v_cmp_gt_u32_e32 vcc, s6, v6
                                        ; implicit-def: $vgpr3
	s_and_saveexec_b64 s[6:7], vcc
	s_xor_b64 s[6:7], exec, s[6:7]
	s_cbranch_execz .LBB9_71
; %bb.66:
	s_mov_b32 s8, 0x387fffff
	v_cmp_lt_u32_e32 vcc, s8, v6
                                        ; implicit-def: $vgpr3
	s_and_saveexec_b64 s[8:9], vcc
	s_xor_b64 s[8:9], exec, s[8:9]
; %bb.67:
	v_bfe_u32 v3, v2, 21, 1
	s_mov_b32 s10, 0x80fffff
	v_add3_u32 v3, v2, v3, s10
	v_lshrrev_b32_e32 v3, 21, v3
; %bb.68:
	s_andn2_saveexec_b64 s[8:9], s[8:9]
; %bb.69:
	s_mov_b32 s10, 0x43000000
	v_add_f32_e64 v3, |v2|, s10
; %bb.70:
	s_or_b64 exec, exec, s[8:9]
                                        ; implicit-def: $vgpr6
.LBB9_71:
	s_andn2_saveexec_b64 s[6:7], s[6:7]
; %bb.72:
	s_mov_b32 s8, 0x7f800000
	v_mov_b32_e32 v3, 0x7c
	v_mov_b32_e32 v7, 0x7f
	v_cmp_lt_u32_e32 vcc, s8, v6
	v_cndmask_b32_e32 v3, v3, v7, vcc
; %bb.73:
	s_or_b64 exec, exec, s[6:7]
	v_lshrrev_b32_e32 v2, 24, v2
	s_movk_i32 s6, 0x80
	v_and_or_b32 v2, v2, s6, v3
	global_store_byte v[4:5], v2, off
.LBB9_74:
	s_mov_b64 s[8:9], 0
	s_mov_b64 s[6:7], -1
.LBB9_75:
	s_andn2_b64 vcc, exec, s[8:9]
	s_cbranch_vccnz .LBB9_83
; %bb.76:
	v_mov_b32_e32 v2, 14
	v_cmp_gt_i16_sdwa s[10:11], v30, v2 src0_sel:BYTE_0 src1_sel:DWORD
	s_mov_b64 s[8:9], -1
	s_and_b64 vcc, exec, s[10:11]
	s_cbranch_vccz .LBB9_80
; %bb.77:
	v_mov_b32_e32 v2, 15
	v_cmp_eq_u16_sdwa s[8:9], v30, v2 src0_sel:BYTE_0 src1_sel:DWORD
	s_mov_b64 s[4:5], -1
	s_and_b64 vcc, exec, s[8:9]
	s_cbranch_vccz .LBB9_79
; %bb.78:
	v_cvt_f32_f64_e32 v2, v[0:1]
	v_bfe_u32 v3, v2, 16, 1
	s_movk_i32 s4, 0x7fff
	v_add3_u32 v3, v2, v3, s4
	v_lshrrev_b32_e32 v3, 16, v3
	v_mov_b32_e32 v6, 0x7fc0
	v_cmp_o_f32_e32 vcc, v2, v2
	v_cndmask_b32_e32 v2, v6, v3, vcc
	global_store_short v[4:5], v2, off
	s_mov_b64 s[6:7], -1
	s_mov_b64 s[4:5], 0
.LBB9_79:
	s_mov_b64 s[8:9], 0
.LBB9_80:
	s_and_b64 vcc, exec, s[8:9]
	s_cbranch_vccz .LBB9_83
; %bb.81:
	v_mov_b32_e32 v2, 11
	v_cmp_eq_u16_sdwa s[8:9], v30, v2 src0_sel:BYTE_0 src1_sel:DWORD
	s_mov_b64 s[4:5], -1
	s_and_b64 vcc, exec, s[8:9]
	s_cbranch_vccz .LBB9_83
; %bb.82:
	v_cmp_neq_f64_e32 vcc, 0, v[0:1]
	s_mov_b64 s[4:5], 0
	v_cndmask_b32_e64 v2, 0, 1, vcc
	s_mov_b64 s[6:7], -1
	global_store_byte v[4:5], v2, off
.LBB9_83:
	s_branch .LBB9_10
.LBB9_84:
	v_mov_b32_e32 v2, 5
	v_cmp_lt_i16_sdwa s[8:9], v30, v2 src0_sel:BYTE_0 src1_sel:DWORD
	s_mov_b64 s[6:7], -1
	s_and_b64 vcc, exec, s[8:9]
	s_cbranch_vccnz .LBB9_105
; %bb.85:
	v_mov_b32_e32 v2, 8
	v_cmp_lt_i16_sdwa s[8:9], v30, v2 src0_sel:BYTE_0 src1_sel:DWORD
	s_and_b64 vcc, exec, s[8:9]
	s_cbranch_vccnz .LBB9_95
; %bb.86:
	v_mov_b32_e32 v2, 9
	v_cmp_lt_i16_sdwa s[8:9], v30, v2 src0_sel:BYTE_0 src1_sel:DWORD
	s_and_b64 vcc, exec, s[8:9]
	s_cbranch_vccnz .LBB9_92
; %bb.87:
	v_cmp_gt_i16_sdwa s[8:9], v30, v2 src0_sel:BYTE_0 src1_sel:DWORD
	s_and_b64 vcc, exec, s[8:9]
	s_cbranch_vccz .LBB9_89
; %bb.88:
	v_mov_b32_e32 v2, 0
	v_mov_b32_e32 v3, v2
	global_store_dwordx4 v[4:5], v[0:3], off
	s_mov_b64 s[6:7], 0
.LBB9_89:
	s_andn2_b64 vcc, exec, s[6:7]
	s_cbranch_vccnz .LBB9_91
; %bb.90:
	v_cvt_f32_f64_e32 v2, v[0:1]
	v_mov_b32_e32 v3, 0
	global_store_dwordx2 v[4:5], v[2:3], off
.LBB9_91:
	s_mov_b64 s[6:7], 0
.LBB9_92:
	s_andn2_b64 vcc, exec, s[6:7]
	s_cbranch_vccnz .LBB9_94
; %bb.93:
	v_cvt_f32_f64_e32 v2, v[0:1]
	v_cvt_f16_f32_e32 v2, v2
	global_store_dword v[4:5], v2, off
.LBB9_94:
	s_mov_b64 s[6:7], 0
.LBB9_95:
	s_andn2_b64 vcc, exec, s[6:7]
	s_cbranch_vccnz .LBB9_104
; %bb.96:
	v_mov_b32_e32 v2, 6
	v_cmp_lt_i16_sdwa s[8:9], v30, v2 src0_sel:BYTE_0 src1_sel:DWORD
	s_mov_b64 s[6:7], -1
	s_and_b64 vcc, exec, s[8:9]
	s_cbranch_vccnz .LBB9_102
; %bb.97:
	v_cmp_gt_i16_sdwa s[8:9], v30, v2 src0_sel:BYTE_0 src1_sel:DWORD
	s_and_b64 vcc, exec, s[8:9]
	s_cbranch_vccz .LBB9_99
; %bb.98:
	global_store_dwordx2 v[4:5], v[0:1], off
	s_mov_b64 s[6:7], 0
.LBB9_99:
	s_andn2_b64 vcc, exec, s[6:7]
	s_cbranch_vccnz .LBB9_101
; %bb.100:
	v_cvt_f32_f64_e32 v2, v[0:1]
	global_store_dword v[4:5], v2, off
.LBB9_101:
	s_mov_b64 s[6:7], 0
.LBB9_102:
	s_andn2_b64 vcc, exec, s[6:7]
	s_cbranch_vccnz .LBB9_104
; %bb.103:
	v_cvt_f32_f64_e32 v2, v[0:1]
	v_cvt_f16_f32_e32 v2, v2
	global_store_short v[4:5], v2, off
.LBB9_104:
	s_mov_b64 s[6:7], 0
.LBB9_105:
	s_andn2_b64 vcc, exec, s[6:7]
	s_cbranch_vccnz .LBB9_121
; %bb.106:
	v_mov_b32_e32 v2, 2
	v_cmp_lt_i16_sdwa s[8:9], v30, v2 src0_sel:BYTE_0 src1_sel:DWORD
	s_mov_b64 s[6:7], -1
	s_and_b64 vcc, exec, s[8:9]
	s_cbranch_vccnz .LBB9_116
; %bb.107:
	v_mov_b32_e32 v2, 3
	v_cmp_lt_i16_sdwa s[8:9], v30, v2 src0_sel:BYTE_0 src1_sel:DWORD
	s_and_b64 vcc, exec, s[8:9]
	s_cbranch_vccnz .LBB9_113
; %bb.108:
	v_cmp_gt_i16_sdwa s[8:9], v30, v2 src0_sel:BYTE_0 src1_sel:DWORD
	s_and_b64 vcc, exec, s[8:9]
	s_cbranch_vccz .LBB9_110
; %bb.109:
	v_trunc_f64_e32 v[2:3], v[0:1]
	s_movk_i32 s6, 0xffe0
	v_ldexp_f64 v[6:7], v[2:3], s6
	v_floor_f64_e32 v[6:7], v[6:7]
	v_fmac_f64_e32 v[2:3], 0xc1f00000, v[6:7]
	v_cvt_i32_f64_e32 v9, v[6:7]
	v_cvt_u32_f64_e32 v8, v[2:3]
	global_store_dwordx2 v[4:5], v[8:9], off
	s_mov_b64 s[6:7], 0
.LBB9_110:
	s_andn2_b64 vcc, exec, s[6:7]
	s_cbranch_vccnz .LBB9_112
; %bb.111:
	v_cvt_i32_f64_e32 v2, v[0:1]
	global_store_dword v[4:5], v2, off
.LBB9_112:
	s_mov_b64 s[6:7], 0
.LBB9_113:
	s_andn2_b64 vcc, exec, s[6:7]
	s_cbranch_vccnz .LBB9_115
; %bb.114:
	v_cvt_i32_f64_e32 v2, v[0:1]
	global_store_short v[4:5], v2, off
.LBB9_115:
	s_mov_b64 s[6:7], 0
.LBB9_116:
	s_andn2_b64 vcc, exec, s[6:7]
	s_cbranch_vccnz .LBB9_121
; %bb.117:
	v_mov_b32_e32 v2, 0
	v_cmp_gt_i16_sdwa s[8:9], v30, v2 src0_sel:BYTE_0 src1_sel:DWORD
	s_mov_b64 s[6:7], -1
	s_and_b64 vcc, exec, s[8:9]
	s_cbranch_vccz .LBB9_119
; %bb.118:
	v_cvt_i32_f64_e32 v2, v[0:1]
	global_store_byte v[4:5], v2, off
	s_mov_b64 s[6:7], 0
.LBB9_119:
	s_andn2_b64 vcc, exec, s[6:7]
	s_cbranch_vccnz .LBB9_121
; %bb.120:
	v_trunc_f64_e32 v[0:1], v[0:1]
	s_movk_i32 s6, 0xffe0
	v_ldexp_f64 v[2:3], v[0:1], s6
	v_floor_f64_e32 v[2:3], v[2:3]
	v_fmac_f64_e32 v[0:1], 0xc1f00000, v[2:3]
	v_cvt_u32_f64_e32 v0, v[0:1]
	global_store_byte v[4:5], v0, off
.LBB9_121:
	s_branch .LBB9_11
.LBB9_122:
	s_mov_b64 s[6:7], 0
                                        ; implicit-def: $vgpr21
.LBB9_123:
	s_and_b64 s[42:43], s[4:5], exec
	s_orn2_b64 s[4:5], s[6:7], exec
.LBB9_124:
	s_or_b64 exec, exec, s[44:45]
	s_mov_b64 s[6:7], 0
                                        ; implicit-def: $vgpr6
                                        ; implicit-def: $vgpr4_vgpr5
                                        ; implicit-def: $vgpr0_vgpr1
	s_and_saveexec_b64 s[44:45], s[4:5]
	s_cbranch_execz .LBB9_133
; %bb.125:
	v_cmp_gt_i32_e32 vcc, s33, v21
	s_mov_b64 s[8:9], -1
	s_mov_b64 s[46:47], s[42:43]
	s_and_saveexec_b64 s[48:49], vcc
	s_cbranch_execz .LBB9_256
; %bb.126:
	v_mov_b32_e32 v0, s38
	v_mov_b32_e32 v1, s39
	;; [unrolled: 1-line block ×5, first 2 shown]
	s_getpc_b64 s[4:5]
	s_add_u32 s4, s4, _ZN2at6native6invokeIZZZNS0_12_GLOBAL__N_130modified_bessel_k0_kernel_cudaERNS_18TensorIteratorBaseEENKUlvE_clEvENKUlvE_clEvEUldE_i15function_traitsIS7_EEENT1_11result_typeERKT_PrKPcPKT0_PKN3c1010ScalarTypeEi@rel32@lo+4
	s_addc_u32 s5, s5, _ZN2at6native6invokeIZZZNS0_12_GLOBAL__N_130modified_bessel_k0_kernel_cudaERNS_18TensorIteratorBaseEENKUlvE_clEvENKUlvE_clEvEUldE_i15function_traitsIS7_EEENT1_11result_typeERKT_PrKPcPKT0_PKN3c1010ScalarTypeEi@rel32@hi+12
	s_swappc_b64 s[30:31], s[4:5]
	v_mul_lo_u32 v2, v21, s28
	v_ashrrev_i32_e32 v3, 31, v2
	v_mov_b32_e32 v5, s37
	v_add_co_u32_e32 v4, vcc, s36, v2
	v_mov_b32_e32 v2, 11
	v_addc_co_u32_e32 v5, vcc, v5, v3, vcc
	v_cmp_lt_i16_sdwa s[4:5], v30, v2 src0_sel:BYTE_0 src1_sel:DWORD
	s_and_b64 vcc, exec, s[4:5]
	s_cbranch_vccnz .LBB9_136
; %bb.127:
	v_mov_b32_e32 v2, 25
	v_cmp_gt_i16_sdwa s[4:5], v30, v2 src0_sel:BYTE_0 src1_sel:DWORD
	s_and_b64 vcc, exec, s[4:5]
	s_cbranch_vccz .LBB9_139
; %bb.128:
	v_mov_b32_e32 v2, 28
	v_cmp_gt_i16_sdwa s[4:5], v30, v2 src0_sel:BYTE_0 src1_sel:DWORD
	s_and_b64 vcc, exec, s[4:5]
	s_cbranch_vccz .LBB9_140
	;; [unrolled: 5-line block ×4, first 2 shown]
; %bb.131:
	v_mov_b32_e32 v2, 46
	v_cmp_eq_u16_sdwa s[6:7], v30, v2 src0_sel:BYTE_0 src1_sel:DWORD
	s_mov_b64 s[8:9], 0
	s_mov_b64 s[4:5], -1
	s_and_b64 vcc, exec, s[6:7]
	s_mov_b64 s[6:7], 0
	s_cbranch_vccz .LBB9_147
; %bb.132:
	v_cvt_f32_f64_e32 v2, v[0:1]
	v_bfe_u32 v3, v2, 16, 1
	s_movk_i32 s4, 0x7fff
	v_add3_u32 v3, v2, v3, s4
	v_lshrrev_b32_e32 v3, 16, v3
	v_mov_b32_e32 v6, 0x7fc0
	v_cmp_o_f32_e32 vcc, v2, v2
	v_cndmask_b32_e32 v2, v6, v3, vcc
	global_store_dword v[4:5], v2, off
	s_mov_b64 s[6:7], -1
	s_mov_b64 s[4:5], 0
	s_branch .LBB9_147
.LBB9_133:
	s_or_b64 exec, exec, s[44:45]
	s_mov_b64 s[4:5], 0
	s_and_saveexec_b64 s[8:9], s[42:43]
	s_cbranch_execnz .LBB9_468
.LBB9_134:
	s_or_b64 exec, exec, s[8:9]
	s_and_saveexec_b64 s[8:9], s[48:49]
	s_xor_b64 s[8:9], exec, s[8:9]
	s_cbranch_execz .LBB9_469
.LBB9_135:
	v_cmp_neq_f64_e32 vcc, 0, v[0:1]
	v_cndmask_b32_e64 v2, 0, 1, vcc
	global_store_byte v[4:5], v2, off
	s_or_b64 exec, exec, s[8:9]
	s_and_saveexec_b64 s[8:9], s[6:7]
	s_xor_b64 s[6:7], exec, s[8:9]
	s_cbranch_execz .LBB9_507
	s_branch .LBB9_470
.LBB9_136:
	s_mov_b64 s[6:7], 0
	s_mov_b64 s[4:5], s[42:43]
	s_cbranch_execnz .LBB9_216
.LBB9_137:
	s_andn2_b64 vcc, exec, s[6:7]
	s_cbranch_vccnz .LBB9_254
.LBB9_138:
	v_add_u32_e32 v21, 0x80, v21
	s_mov_b64 s[6:7], -1
	s_branch .LBB9_255
.LBB9_139:
	s_mov_b64 s[8:9], -1
	s_mov_b64 s[6:7], 0
	s_mov_b64 s[4:5], s[42:43]
	s_branch .LBB9_174
.LBB9_140:
	s_mov_b64 s[8:9], -1
	s_mov_b64 s[6:7], 0
	s_mov_b64 s[4:5], s[42:43]
	s_branch .LBB9_157
.LBB9_141:
	s_or_saveexec_b64 s[10:11], s[10:11]
                                        ; implicit-def: $sgpr12
	s_xor_b64 exec, exec, s[10:11]
	s_cbranch_execz .LBB9_37
.LBB9_142:
	s_mov_b32 s12, 0x46000000
	v_add_f32_e64 v3, |v2|, s12
	v_and_b32_e32 v3, 0xff, v3
	v_cmp_ne_u32_e32 vcc, 0, v3
	s_andn2_b64 s[8:9], s[8:9], exec
	s_and_b64 s[14:15], vcc, exec
	s_mov_b32 s12, 0
	s_or_b64 s[8:9], s[8:9], s[14:15]
	s_or_b64 exec, exec, s[10:11]
	v_mov_b32_e32 v6, s12
	s_and_saveexec_b64 s[10:11], s[8:9]
	s_cbranch_execnz .LBB9_38
	s_branch .LBB9_39
.LBB9_143:
	s_mov_b64 s[8:9], -1
	s_mov_b64 s[6:7], 0
	s_mov_b64 s[4:5], s[42:43]
	s_branch .LBB9_153
.LBB9_144:
	s_or_saveexec_b64 s[10:11], s[10:11]
                                        ; implicit-def: $sgpr12
	s_xor_b64 exec, exec, s[10:11]
	s_cbranch_execz .LBB9_49
.LBB9_145:
	s_mov_b32 s12, 0x42800000
	v_add_f32_e64 v3, |v2|, s12
	v_and_b32_e32 v3, 0xff, v3
	v_cmp_ne_u32_e32 vcc, 0, v3
	s_andn2_b64 s[8:9], s[8:9], exec
	s_and_b64 s[14:15], vcc, exec
	s_mov_b32 s12, 0
	s_or_b64 s[8:9], s[8:9], s[14:15]
	s_or_b64 exec, exec, s[10:11]
	v_mov_b32_e32 v6, s12
	s_and_saveexec_b64 s[10:11], s[8:9]
	s_cbranch_execnz .LBB9_50
	s_branch .LBB9_51
.LBB9_146:
	s_mov_b64 s[8:9], -1
	s_mov_b64 s[6:7], 0
	s_mov_b64 s[4:5], s[42:43]
.LBB9_147:
	s_and_b64 vcc, exec, s[8:9]
	s_cbranch_vccz .LBB9_152
; %bb.148:
	v_mov_b32_e32 v2, 44
	v_cmp_eq_u16_sdwa s[8:9], v30, v2 src0_sel:BYTE_0 src1_sel:DWORD
	s_mov_b64 s[4:5], -1
	s_and_b64 vcc, exec, s[8:9]
	s_cbranch_vccz .LBB9_152
; %bb.149:
	v_cvt_f32_f64_e32 v2, v[0:1]
	v_bfe_u32 v3, v2, 23, 8
	s_movk_i32 s4, 0xff
	v_cmp_ne_u32_e32 vcc, s4, v3
	v_mov_b32_e32 v6, 0xff
	s_and_saveexec_b64 s[6:7], vcc
; %bb.150:
	s_mov_b32 s4, 0x3fffff
	v_lshrrev_b32_e32 v6, 23, v2
	v_and_b32_e32 v7, 0x400000, v2
	v_and_or_b32 v2, v2, s4, v3
	v_cmp_ne_u32_e32 vcc, 0, v7
	v_cmp_ne_u32_e64 s[4:5], 0, v2
	s_and_b64 s[4:5], vcc, s[4:5]
	v_cndmask_b32_e64 v2, 0, 1, s[4:5]
	v_add_u32_e32 v6, v6, v2
; %bb.151:
	s_or_b64 exec, exec, s[6:7]
	s_mov_b64 s[6:7], -1
	s_mov_b64 s[4:5], 0
	global_store_byte v[4:5], v6, off
.LBB9_152:
	s_mov_b64 s[8:9], 0
.LBB9_153:
	s_and_b64 vcc, exec, s[8:9]
	s_cbranch_vccz .LBB9_156
; %bb.154:
	v_mov_b32_e32 v2, 29
	v_cmp_eq_u16_sdwa s[8:9], v30, v2 src0_sel:BYTE_0 src1_sel:DWORD
	s_mov_b64 s[4:5], -1
	s_and_b64 vcc, exec, s[8:9]
	s_cbranch_vccz .LBB9_156
; %bb.155:
	v_trunc_f64_e32 v[2:3], v[0:1]
	s_movk_i32 s4, 0xffe0
	v_ldexp_f64 v[6:7], v[2:3], s4
	v_floor_f64_e32 v[6:7], v[6:7]
	v_fmac_f64_e32 v[2:3], 0xc1f00000, v[6:7]
	v_cvt_u32_f64_e32 v9, v[6:7]
	v_cvt_u32_f64_e32 v8, v[2:3]
	global_store_dwordx2 v[4:5], v[8:9], off
	s_mov_b64 s[6:7], -1
	s_mov_b64 s[4:5], 0
.LBB9_156:
	s_mov_b64 s[8:9], 0
.LBB9_157:
	s_and_b64 vcc, exec, s[8:9]
	s_cbranch_vccz .LBB9_173
; %bb.158:
	v_mov_b32_e32 v2, 27
	v_cmp_lt_i16_sdwa s[8:9], v30, v2 src0_sel:BYTE_0 src1_sel:DWORD
	s_mov_b64 s[6:7], -1
	s_and_b64 vcc, exec, s[8:9]
	s_cbranch_vccnz .LBB9_164
; %bb.159:
	v_cmp_gt_i16_sdwa s[8:9], v30, v2 src0_sel:BYTE_0 src1_sel:DWORD
	s_and_b64 vcc, exec, s[8:9]
	v_cvt_u32_f64_e32 v2, v[0:1]
	s_cbranch_vccz .LBB9_161
; %bb.160:
	s_mov_b64 s[6:7], 0
	global_store_dword v[4:5], v2, off
.LBB9_161:
	s_andn2_b64 vcc, exec, s[6:7]
	s_cbranch_vccnz .LBB9_163
; %bb.162:
	global_store_short v[4:5], v2, off
.LBB9_163:
	s_mov_b64 s[6:7], 0
.LBB9_164:
	s_andn2_b64 vcc, exec, s[6:7]
	s_cbranch_vccnz .LBB9_172
; %bb.165:
	v_cvt_f32_f64_e32 v2, v[0:1]
	v_and_b32_e32 v3, 0x7fffffff, v2
	s_mov_b32 s6, 0x43800000
	v_cmp_gt_u32_e32 vcc, s6, v3
	v_mov_b32_e32 v6, 0x80
	s_and_saveexec_b64 s[6:7], vcc
	s_cbranch_execz .LBB9_171
; %bb.166:
	s_mov_b32 s8, 0x3bffffff
	v_cmp_lt_u32_e32 vcc, s8, v3
	s_mov_b64 s[8:9], 0
                                        ; implicit-def: $vgpr3
	s_and_saveexec_b64 s[10:11], vcc
	s_xor_b64 s[10:11], exec, s[10:11]
	s_cbranch_execz .LBB9_268
; %bb.167:
	v_bfe_u32 v3, v2, 20, 1
	s_mov_b32 s12, 0x487ffff
	v_add3_u32 v3, v2, v3, s12
	s_mov_b64 s[8:9], exec
	v_lshrrev_b32_e32 v3, 20, v3
	s_or_saveexec_b64 s[10:11], s[10:11]
                                        ; implicit-def: $sgpr12
	s_xor_b64 exec, exec, s[10:11]
	s_cbranch_execnz .LBB9_269
.LBB9_168:
	s_or_b64 exec, exec, s[10:11]
	v_mov_b32_e32 v6, s12
	s_and_saveexec_b64 s[10:11], s[8:9]
.LBB9_169:
	v_lshrrev_b32_e32 v2, 24, v2
	s_movk_i32 s8, 0x80
	v_and_or_b32 v6, v2, s8, v3
.LBB9_170:
	s_or_b64 exec, exec, s[10:11]
.LBB9_171:
	s_or_b64 exec, exec, s[6:7]
	global_store_byte v[4:5], v6, off
.LBB9_172:
	s_mov_b64 s[6:7], -1
.LBB9_173:
	s_mov_b64 s[8:9], 0
.LBB9_174:
	s_and_b64 vcc, exec, s[8:9]
	s_cbranch_vccz .LBB9_215
; %bb.175:
	v_mov_b32_e32 v2, 22
	v_cmp_gt_i16_sdwa s[10:11], v30, v2 src0_sel:BYTE_0 src1_sel:DWORD
	s_mov_b64 s[8:9], -1
	s_and_b64 vcc, exec, s[10:11]
	s_cbranch_vccz .LBB9_207
; %bb.176:
	v_mov_b32_e32 v2, 24
	v_cmp_lt_i16_sdwa s[8:9], v30, v2 src0_sel:BYTE_0 src1_sel:DWORD
	s_mov_b64 s[6:7], -1
	s_and_b64 vcc, exec, s[8:9]
	s_cbranch_vccnz .LBB9_196
; %bb.177:
	v_cmp_gt_i16_sdwa s[8:9], v30, v2 src0_sel:BYTE_0 src1_sel:DWORD
	s_and_b64 vcc, exec, s[8:9]
	s_cbranch_vccz .LBB9_185
; %bb.178:
	v_cvt_f32_f64_e32 v2, v[0:1]
	v_and_b32_e32 v3, 0x7fffffff, v2
	s_mov_b32 s6, 0x47800000
	v_cmp_gt_u32_e32 vcc, s6, v3
	v_mov_b32_e32 v6, 0x80
	s_and_saveexec_b64 s[6:7], vcc
	s_cbranch_execz .LBB9_184
; %bb.179:
	s_mov_b32 s8, 0x37ffffff
	v_cmp_lt_u32_e32 vcc, s8, v3
	s_mov_b64 s[8:9], 0
                                        ; implicit-def: $vgpr3
	s_and_saveexec_b64 s[10:11], vcc
	s_xor_b64 s[10:11], exec, s[10:11]
	s_cbranch_execz .LBB9_271
; %bb.180:
	v_bfe_u32 v3, v2, 21, 1
	s_mov_b32 s12, 0x88fffff
	v_add3_u32 v3, v2, v3, s12
	s_mov_b64 s[8:9], exec
	v_lshrrev_b32_e32 v3, 21, v3
	s_or_saveexec_b64 s[10:11], s[10:11]
                                        ; implicit-def: $sgpr12
	s_xor_b64 exec, exec, s[10:11]
	s_cbranch_execnz .LBB9_272
.LBB9_181:
	s_or_b64 exec, exec, s[10:11]
	v_mov_b32_e32 v6, s12
	s_and_saveexec_b64 s[10:11], s[8:9]
.LBB9_182:
	v_lshrrev_b32_e32 v2, 24, v2
	s_movk_i32 s8, 0x80
	v_and_or_b32 v6, v2, s8, v3
.LBB9_183:
	s_or_b64 exec, exec, s[10:11]
.LBB9_184:
	s_or_b64 exec, exec, s[6:7]
	s_mov_b64 s[6:7], 0
	global_store_byte v[4:5], v6, off
.LBB9_185:
	s_and_b64 vcc, exec, s[6:7]
	s_cbranch_vccz .LBB9_195
; %bb.186:
	v_cvt_f32_f64_e32 v2, v[0:1]
	v_and_b32_e32 v6, 0x7fffffff, v2
	s_mov_b32 s6, 0x43f00000
	v_cmp_gt_u32_e32 vcc, s6, v6
                                        ; implicit-def: $vgpr3
	s_and_saveexec_b64 s[6:7], vcc
	s_xor_b64 s[6:7], exec, s[6:7]
	s_cbranch_execz .LBB9_192
; %bb.187:
	s_mov_b32 s8, 0x3c7fffff
	v_cmp_lt_u32_e32 vcc, s8, v6
                                        ; implicit-def: $vgpr3
	s_and_saveexec_b64 s[8:9], vcc
	s_xor_b64 s[8:9], exec, s[8:9]
; %bb.188:
	v_bfe_u32 v3, v2, 20, 1
	s_mov_b32 s10, 0x407ffff
	v_add3_u32 v3, v2, v3, s10
	v_lshrrev_b32_e32 v6, 20, v3
	v_and_b32_e32 v3, 0xff00000, v3
	s_mov_b32 s10, 0x7f00000
	v_mov_b32_e32 v7, 0x7e
	v_cmp_ne_u32_e32 vcc, s10, v3
	v_cndmask_b32_e32 v3, v7, v6, vcc
; %bb.189:
	s_andn2_saveexec_b64 s[8:9], s[8:9]
; %bb.190:
	s_mov_b32 s10, 0x46800000
	v_add_f32_e64 v3, |v2|, s10
; %bb.191:
	s_or_b64 exec, exec, s[8:9]
                                        ; implicit-def: $vgpr6
.LBB9_192:
	s_andn2_saveexec_b64 s[6:7], s[6:7]
; %bb.193:
	s_mov_b32 s8, 0x7f800000
	v_mov_b32_e32 v3, 0x7e
	v_mov_b32_e32 v7, 0x7f
	v_cmp_lt_u32_e32 vcc, s8, v6
	v_cndmask_b32_e32 v3, v3, v7, vcc
; %bb.194:
	s_or_b64 exec, exec, s[6:7]
	v_lshrrev_b32_e32 v2, 24, v2
	s_movk_i32 s6, 0x80
	v_and_or_b32 v2, v2, s6, v3
	global_store_byte v[4:5], v2, off
.LBB9_195:
	s_mov_b64 s[6:7], 0
.LBB9_196:
	s_andn2_b64 vcc, exec, s[6:7]
	s_cbranch_vccnz .LBB9_206
; %bb.197:
	v_cvt_f32_f64_e32 v2, v[0:1]
	v_and_b32_e32 v6, 0x7fffffff, v2
	s_mov_b32 s6, 0x47800000
	v_cmp_gt_u32_e32 vcc, s6, v6
                                        ; implicit-def: $vgpr3
	s_and_saveexec_b64 s[6:7], vcc
	s_xor_b64 s[6:7], exec, s[6:7]
	s_cbranch_execz .LBB9_203
; %bb.198:
	s_mov_b32 s8, 0x387fffff
	v_cmp_lt_u32_e32 vcc, s8, v6
                                        ; implicit-def: $vgpr3
	s_and_saveexec_b64 s[8:9], vcc
	s_xor_b64 s[8:9], exec, s[8:9]
; %bb.199:
	v_bfe_u32 v3, v2, 21, 1
	s_mov_b32 s10, 0x80fffff
	v_add3_u32 v3, v2, v3, s10
	v_lshrrev_b32_e32 v3, 21, v3
; %bb.200:
	s_andn2_saveexec_b64 s[8:9], s[8:9]
; %bb.201:
	s_mov_b32 s10, 0x43000000
	v_add_f32_e64 v3, |v2|, s10
; %bb.202:
	s_or_b64 exec, exec, s[8:9]
                                        ; implicit-def: $vgpr6
.LBB9_203:
	s_andn2_saveexec_b64 s[6:7], s[6:7]
; %bb.204:
	s_mov_b32 s8, 0x7f800000
	v_mov_b32_e32 v3, 0x7c
	v_mov_b32_e32 v7, 0x7f
	v_cmp_lt_u32_e32 vcc, s8, v6
	v_cndmask_b32_e32 v3, v3, v7, vcc
; %bb.205:
	s_or_b64 exec, exec, s[6:7]
	v_lshrrev_b32_e32 v2, 24, v2
	s_movk_i32 s6, 0x80
	v_and_or_b32 v2, v2, s6, v3
	global_store_byte v[4:5], v2, off
.LBB9_206:
	s_mov_b64 s[8:9], 0
	s_mov_b64 s[6:7], -1
.LBB9_207:
	s_andn2_b64 vcc, exec, s[8:9]
	s_cbranch_vccnz .LBB9_215
; %bb.208:
	v_mov_b32_e32 v2, 14
	v_cmp_gt_i16_sdwa s[10:11], v30, v2 src0_sel:BYTE_0 src1_sel:DWORD
	s_mov_b64 s[8:9], -1
	s_and_b64 vcc, exec, s[10:11]
	s_cbranch_vccz .LBB9_212
; %bb.209:
	v_mov_b32_e32 v2, 15
	v_cmp_eq_u16_sdwa s[8:9], v30, v2 src0_sel:BYTE_0 src1_sel:DWORD
	s_mov_b64 s[4:5], -1
	s_and_b64 vcc, exec, s[8:9]
	s_cbranch_vccz .LBB9_211
; %bb.210:
	v_cvt_f32_f64_e32 v2, v[0:1]
	v_bfe_u32 v3, v2, 16, 1
	s_movk_i32 s4, 0x7fff
	v_add3_u32 v3, v2, v3, s4
	v_lshrrev_b32_e32 v3, 16, v3
	v_mov_b32_e32 v6, 0x7fc0
	v_cmp_o_f32_e32 vcc, v2, v2
	v_cndmask_b32_e32 v2, v6, v3, vcc
	global_store_short v[4:5], v2, off
	s_mov_b64 s[6:7], -1
	s_mov_b64 s[4:5], 0
.LBB9_211:
	s_mov_b64 s[8:9], 0
.LBB9_212:
	s_and_b64 vcc, exec, s[8:9]
	s_cbranch_vccz .LBB9_215
; %bb.213:
	v_mov_b32_e32 v2, 11
	v_cmp_eq_u16_sdwa s[8:9], v30, v2 src0_sel:BYTE_0 src1_sel:DWORD
	s_mov_b64 s[4:5], -1
	s_and_b64 vcc, exec, s[8:9]
	s_cbranch_vccz .LBB9_215
; %bb.214:
	v_cmp_neq_f64_e32 vcc, 0, v[0:1]
	s_mov_b64 s[4:5], 0
	v_cndmask_b32_e64 v2, 0, 1, vcc
	s_mov_b64 s[6:7], -1
	global_store_byte v[4:5], v2, off
.LBB9_215:
	s_branch .LBB9_137
.LBB9_216:
	v_mov_b32_e32 v2, 5
	v_cmp_lt_i16_sdwa s[8:9], v30, v2 src0_sel:BYTE_0 src1_sel:DWORD
	s_mov_b64 s[6:7], -1
	s_and_b64 vcc, exec, s[8:9]
	s_cbranch_vccnz .LBB9_237
; %bb.217:
	v_mov_b32_e32 v2, 8
	v_cmp_lt_i16_sdwa s[8:9], v30, v2 src0_sel:BYTE_0 src1_sel:DWORD
	s_and_b64 vcc, exec, s[8:9]
	s_cbranch_vccnz .LBB9_227
; %bb.218:
	v_mov_b32_e32 v2, 9
	v_cmp_lt_i16_sdwa s[8:9], v30, v2 src0_sel:BYTE_0 src1_sel:DWORD
	s_and_b64 vcc, exec, s[8:9]
	s_cbranch_vccnz .LBB9_224
; %bb.219:
	v_cmp_gt_i16_sdwa s[8:9], v30, v2 src0_sel:BYTE_0 src1_sel:DWORD
	s_and_b64 vcc, exec, s[8:9]
	s_cbranch_vccz .LBB9_221
; %bb.220:
	v_mov_b32_e32 v2, 0
	v_mov_b32_e32 v3, v2
	s_mov_b64 s[6:7], 0
	global_store_dwordx4 v[4:5], v[0:3], off
.LBB9_221:
	s_andn2_b64 vcc, exec, s[6:7]
	s_cbranch_vccnz .LBB9_223
; %bb.222:
	v_cvt_f32_f64_e32 v2, v[0:1]
	v_mov_b32_e32 v3, 0
	global_store_dwordx2 v[4:5], v[2:3], off
.LBB9_223:
	s_mov_b64 s[6:7], 0
.LBB9_224:
	s_andn2_b64 vcc, exec, s[6:7]
	s_cbranch_vccnz .LBB9_226
; %bb.225:
	v_cvt_f32_f64_e32 v2, v[0:1]
	v_cvt_f16_f32_e32 v2, v2
	global_store_dword v[4:5], v2, off
.LBB9_226:
	s_mov_b64 s[6:7], 0
.LBB9_227:
	s_andn2_b64 vcc, exec, s[6:7]
	s_cbranch_vccnz .LBB9_236
; %bb.228:
	v_mov_b32_e32 v2, 6
	v_cmp_lt_i16_sdwa s[8:9], v30, v2 src0_sel:BYTE_0 src1_sel:DWORD
	s_mov_b64 s[6:7], -1
	s_and_b64 vcc, exec, s[8:9]
	s_cbranch_vccnz .LBB9_234
; %bb.229:
	v_cmp_gt_i16_sdwa s[8:9], v30, v2 src0_sel:BYTE_0 src1_sel:DWORD
	s_and_b64 vcc, exec, s[8:9]
	s_cbranch_vccz .LBB9_231
; %bb.230:
	s_mov_b64 s[6:7], 0
	global_store_dwordx2 v[4:5], v[0:1], off
.LBB9_231:
	s_andn2_b64 vcc, exec, s[6:7]
	s_cbranch_vccnz .LBB9_233
; %bb.232:
	v_cvt_f32_f64_e32 v2, v[0:1]
	global_store_dword v[4:5], v2, off
.LBB9_233:
	s_mov_b64 s[6:7], 0
.LBB9_234:
	s_andn2_b64 vcc, exec, s[6:7]
	s_cbranch_vccnz .LBB9_236
; %bb.235:
	v_cvt_f32_f64_e32 v2, v[0:1]
	v_cvt_f16_f32_e32 v2, v2
	global_store_short v[4:5], v2, off
.LBB9_236:
	s_mov_b64 s[6:7], 0
.LBB9_237:
	s_andn2_b64 vcc, exec, s[6:7]
	s_cbranch_vccnz .LBB9_253
; %bb.238:
	v_mov_b32_e32 v2, 2
	v_cmp_lt_i16_sdwa s[8:9], v30, v2 src0_sel:BYTE_0 src1_sel:DWORD
	s_mov_b64 s[6:7], -1
	s_and_b64 vcc, exec, s[8:9]
	s_cbranch_vccnz .LBB9_248
; %bb.239:
	v_mov_b32_e32 v2, 3
	v_cmp_lt_i16_sdwa s[8:9], v30, v2 src0_sel:BYTE_0 src1_sel:DWORD
	s_and_b64 vcc, exec, s[8:9]
	s_cbranch_vccnz .LBB9_245
; %bb.240:
	v_cmp_gt_i16_sdwa s[8:9], v30, v2 src0_sel:BYTE_0 src1_sel:DWORD
	s_and_b64 vcc, exec, s[8:9]
	s_cbranch_vccz .LBB9_242
; %bb.241:
	v_trunc_f64_e32 v[2:3], v[0:1]
	s_movk_i32 s6, 0xffe0
	v_ldexp_f64 v[6:7], v[2:3], s6
	v_floor_f64_e32 v[6:7], v[6:7]
	v_fmac_f64_e32 v[2:3], 0xc1f00000, v[6:7]
	v_cvt_i32_f64_e32 v9, v[6:7]
	v_cvt_u32_f64_e32 v8, v[2:3]
	s_mov_b64 s[6:7], 0
	global_store_dwordx2 v[4:5], v[8:9], off
.LBB9_242:
	s_andn2_b64 vcc, exec, s[6:7]
	s_cbranch_vccnz .LBB9_244
; %bb.243:
	v_cvt_i32_f64_e32 v2, v[0:1]
	global_store_dword v[4:5], v2, off
.LBB9_244:
	s_mov_b64 s[6:7], 0
.LBB9_245:
	s_andn2_b64 vcc, exec, s[6:7]
	s_cbranch_vccnz .LBB9_247
; %bb.246:
	v_cvt_i32_f64_e32 v2, v[0:1]
	global_store_short v[4:5], v2, off
.LBB9_247:
	s_mov_b64 s[6:7], 0
.LBB9_248:
	s_andn2_b64 vcc, exec, s[6:7]
	s_cbranch_vccnz .LBB9_253
; %bb.249:
	v_mov_b32_e32 v2, 0
	v_cmp_gt_i16_sdwa s[8:9], v30, v2 src0_sel:BYTE_0 src1_sel:DWORD
	s_mov_b64 s[6:7], -1
	s_and_b64 vcc, exec, s[8:9]
	s_cbranch_vccz .LBB9_251
; %bb.250:
	v_cvt_i32_f64_e32 v2, v[0:1]
	s_mov_b64 s[6:7], 0
	global_store_byte v[4:5], v2, off
.LBB9_251:
	s_andn2_b64 vcc, exec, s[6:7]
	s_cbranch_vccnz .LBB9_253
; %bb.252:
	v_trunc_f64_e32 v[0:1], v[0:1]
	s_movk_i32 s6, 0xffe0
	v_ldexp_f64 v[2:3], v[0:1], s6
	v_floor_f64_e32 v[2:3], v[2:3]
	v_fmac_f64_e32 v[0:1], 0xc1f00000, v[2:3]
	v_cvt_u32_f64_e32 v0, v[0:1]
	global_store_byte v[4:5], v0, off
.LBB9_253:
	s_branch .LBB9_138
.LBB9_254:
	s_mov_b64 s[6:7], 0
                                        ; implicit-def: $vgpr21
.LBB9_255:
	s_andn2_b64 s[8:9], s[42:43], exec
	s_and_b64 s[4:5], s[4:5], exec
	s_or_b64 s[46:47], s[8:9], s[4:5]
	s_orn2_b64 s[8:9], s[6:7], exec
.LBB9_256:
	s_or_b64 exec, exec, s[48:49]
	s_mov_b64 s[4:5], 0
	s_mov_b64 s[6:7], 0
                                        ; implicit-def: $vgpr6
                                        ; implicit-def: $vgpr4_vgpr5
                                        ; implicit-def: $vgpr0_vgpr1
	s_and_saveexec_b64 s[48:49], s[8:9]
	s_cbranch_execz .LBB9_467
; %bb.257:
	v_cmp_gt_i32_e32 vcc, s33, v21
	s_mov_b64 s[6:7], -1
	s_mov_b64 s[52:53], s[46:47]
	s_and_saveexec_b64 s[50:51], vcc
	s_cbranch_execz .LBB9_386
; %bb.258:
	v_mov_b32_e32 v0, s38
	v_mov_b32_e32 v1, s39
	;; [unrolled: 1-line block ×5, first 2 shown]
	s_getpc_b64 s[4:5]
	s_add_u32 s4, s4, _ZN2at6native6invokeIZZZNS0_12_GLOBAL__N_130modified_bessel_k0_kernel_cudaERNS_18TensorIteratorBaseEENKUlvE_clEvENKUlvE_clEvEUldE_i15function_traitsIS7_EEENT1_11result_typeERKT_PrKPcPKT0_PKN3c1010ScalarTypeEi@rel32@lo+4
	s_addc_u32 s5, s5, _ZN2at6native6invokeIZZZNS0_12_GLOBAL__N_130modified_bessel_k0_kernel_cudaERNS_18TensorIteratorBaseEENKUlvE_clEvENKUlvE_clEvEUldE_i15function_traitsIS7_EEENT1_11result_typeERKT_PrKPcPKT0_PKN3c1010ScalarTypeEi@rel32@hi+12
	s_swappc_b64 s[30:31], s[4:5]
	v_mul_lo_u32 v2, v21, s28
	v_ashrrev_i32_e32 v3, 31, v2
	v_mov_b32_e32 v5, s37
	v_add_co_u32_e32 v4, vcc, s36, v2
	v_mov_b32_e32 v2, 11
	v_addc_co_u32_e32 v5, vcc, v5, v3, vcc
	v_cmp_lt_i16_sdwa s[4:5], v30, v2 src0_sel:BYTE_0 src1_sel:DWORD
	s_and_b64 vcc, exec, s[4:5]
	s_cbranch_vccnz .LBB9_265
; %bb.259:
	v_mov_b32_e32 v2, 25
	v_cmp_gt_i16_sdwa s[4:5], v30, v2 src0_sel:BYTE_0 src1_sel:DWORD
	s_and_b64 vcc, exec, s[4:5]
	s_cbranch_vccz .LBB9_266
; %bb.260:
	v_mov_b32_e32 v2, 28
	v_cmp_gt_i16_sdwa s[4:5], v30, v2 src0_sel:BYTE_0 src1_sel:DWORD
	s_and_b64 vcc, exec, s[4:5]
	s_cbranch_vccz .LBB9_267
	;; [unrolled: 5-line block ×4, first 2 shown]
; %bb.263:
	v_mov_b32_e32 v2, 46
	v_cmp_eq_u16_sdwa s[6:7], v30, v2 src0_sel:BYTE_0 src1_sel:DWORD
	s_mov_b64 s[8:9], 0
	s_mov_b64 s[4:5], -1
	s_and_b64 vcc, exec, s[6:7]
	s_mov_b64 s[6:7], 0
	s_cbranch_vccz .LBB9_274
; %bb.264:
	v_cvt_f32_f64_e32 v2, v[0:1]
	v_bfe_u32 v3, v2, 16, 1
	s_movk_i32 s4, 0x7fff
	v_add3_u32 v3, v2, v3, s4
	v_lshrrev_b32_e32 v3, 16, v3
	v_mov_b32_e32 v6, 0x7fc0
	v_cmp_o_f32_e32 vcc, v2, v2
	v_cndmask_b32_e32 v2, v6, v3, vcc
	global_store_dword v[4:5], v2, off
	s_mov_b64 s[6:7], -1
	s_mov_b64 s[4:5], 0
	s_branch .LBB9_274
.LBB9_265:
	s_mov_b64 s[8:9], -1
	s_mov_b64 s[6:7], 0
	s_mov_b64 s[4:5], s[46:47]
	s_branch .LBB9_343
.LBB9_266:
	s_mov_b64 s[8:9], -1
	s_mov_b64 s[6:7], 0
	s_mov_b64 s[4:5], s[46:47]
	s_branch .LBB9_301
.LBB9_267:
	s_mov_b64 s[8:9], -1
	s_mov_b64 s[6:7], 0
	s_mov_b64 s[4:5], s[46:47]
	s_branch .LBB9_284
.LBB9_268:
	s_or_saveexec_b64 s[10:11], s[10:11]
                                        ; implicit-def: $sgpr12
	s_xor_b64 exec, exec, s[10:11]
	s_cbranch_execz .LBB9_168
.LBB9_269:
	s_mov_b32 s12, 0x46000000
	v_add_f32_e64 v3, |v2|, s12
	v_and_b32_e32 v3, 0xff, v3
	v_cmp_ne_u32_e32 vcc, 0, v3
	s_andn2_b64 s[8:9], s[8:9], exec
	s_and_b64 s[14:15], vcc, exec
	s_mov_b32 s12, 0
	s_or_b64 s[8:9], s[8:9], s[14:15]
	s_or_b64 exec, exec, s[10:11]
	v_mov_b32_e32 v6, s12
	s_and_saveexec_b64 s[10:11], s[8:9]
	s_cbranch_execnz .LBB9_169
	s_branch .LBB9_170
.LBB9_270:
	s_mov_b64 s[8:9], -1
	s_mov_b64 s[6:7], 0
	s_mov_b64 s[4:5], s[46:47]
	s_branch .LBB9_280
.LBB9_271:
	s_or_saveexec_b64 s[10:11], s[10:11]
                                        ; implicit-def: $sgpr12
	s_xor_b64 exec, exec, s[10:11]
	s_cbranch_execz .LBB9_181
.LBB9_272:
	s_mov_b32 s12, 0x42800000
	v_add_f32_e64 v3, |v2|, s12
	v_and_b32_e32 v3, 0xff, v3
	v_cmp_ne_u32_e32 vcc, 0, v3
	s_andn2_b64 s[8:9], s[8:9], exec
	s_and_b64 s[14:15], vcc, exec
	s_mov_b32 s12, 0
	s_or_b64 s[8:9], s[8:9], s[14:15]
	s_or_b64 exec, exec, s[10:11]
	v_mov_b32_e32 v6, s12
	s_and_saveexec_b64 s[10:11], s[8:9]
	s_cbranch_execnz .LBB9_182
	s_branch .LBB9_183
.LBB9_273:
	s_mov_b64 s[8:9], -1
	s_mov_b64 s[6:7], 0
	s_mov_b64 s[4:5], s[46:47]
.LBB9_274:
	s_and_b64 vcc, exec, s[8:9]
	s_cbranch_vccz .LBB9_279
; %bb.275:
	v_mov_b32_e32 v2, 44
	v_cmp_eq_u16_sdwa s[8:9], v30, v2 src0_sel:BYTE_0 src1_sel:DWORD
	s_mov_b64 s[4:5], -1
	s_and_b64 vcc, exec, s[8:9]
	s_cbranch_vccz .LBB9_279
; %bb.276:
	v_cvt_f32_f64_e32 v2, v[0:1]
	v_bfe_u32 v3, v2, 23, 8
	s_movk_i32 s4, 0xff
	v_cmp_ne_u32_e32 vcc, s4, v3
	v_mov_b32_e32 v6, 0xff
	s_and_saveexec_b64 s[6:7], vcc
; %bb.277:
	s_mov_b32 s4, 0x3fffff
	v_lshrrev_b32_e32 v6, 23, v2
	v_and_b32_e32 v7, 0x400000, v2
	v_and_or_b32 v2, v2, s4, v3
	v_cmp_ne_u32_e32 vcc, 0, v7
	v_cmp_ne_u32_e64 s[4:5], 0, v2
	s_and_b64 s[4:5], vcc, s[4:5]
	v_cndmask_b32_e64 v2, 0, 1, s[4:5]
	v_add_u32_e32 v6, v6, v2
; %bb.278:
	s_or_b64 exec, exec, s[6:7]
	s_mov_b64 s[6:7], -1
	s_mov_b64 s[4:5], 0
	global_store_byte v[4:5], v6, off
.LBB9_279:
	s_mov_b64 s[8:9], 0
.LBB9_280:
	s_and_b64 vcc, exec, s[8:9]
	s_cbranch_vccz .LBB9_283
; %bb.281:
	v_mov_b32_e32 v2, 29
	v_cmp_eq_u16_sdwa s[8:9], v30, v2 src0_sel:BYTE_0 src1_sel:DWORD
	s_mov_b64 s[4:5], -1
	s_and_b64 vcc, exec, s[8:9]
	s_cbranch_vccz .LBB9_283
; %bb.282:
	v_trunc_f64_e32 v[2:3], v[0:1]
	s_movk_i32 s4, 0xffe0
	v_ldexp_f64 v[6:7], v[2:3], s4
	v_floor_f64_e32 v[6:7], v[6:7]
	v_fmac_f64_e32 v[2:3], 0xc1f00000, v[6:7]
	v_cvt_u32_f64_e32 v9, v[6:7]
	v_cvt_u32_f64_e32 v8, v[2:3]
	global_store_dwordx2 v[4:5], v[8:9], off
	s_mov_b64 s[6:7], -1
	s_mov_b64 s[4:5], 0
.LBB9_283:
	s_mov_b64 s[8:9], 0
.LBB9_284:
	s_and_b64 vcc, exec, s[8:9]
	s_cbranch_vccz .LBB9_300
; %bb.285:
	v_mov_b32_e32 v2, 27
	v_cmp_lt_i16_sdwa s[8:9], v30, v2 src0_sel:BYTE_0 src1_sel:DWORD
	s_mov_b64 s[6:7], -1
	s_and_b64 vcc, exec, s[8:9]
	s_cbranch_vccnz .LBB9_291
; %bb.286:
	v_cmp_gt_i16_sdwa s[8:9], v30, v2 src0_sel:BYTE_0 src1_sel:DWORD
	s_and_b64 vcc, exec, s[8:9]
	v_cvt_u32_f64_e32 v2, v[0:1]
	s_cbranch_vccz .LBB9_288
; %bb.287:
	s_mov_b64 s[6:7], 0
	global_store_dword v[4:5], v2, off
.LBB9_288:
	s_andn2_b64 vcc, exec, s[6:7]
	s_cbranch_vccnz .LBB9_290
; %bb.289:
	global_store_short v[4:5], v2, off
.LBB9_290:
	s_mov_b64 s[6:7], 0
.LBB9_291:
	s_andn2_b64 vcc, exec, s[6:7]
	s_cbranch_vccnz .LBB9_299
; %bb.292:
	v_cvt_f32_f64_e32 v2, v[0:1]
	v_and_b32_e32 v3, 0x7fffffff, v2
	s_mov_b32 s6, 0x43800000
	v_cmp_gt_u32_e32 vcc, s6, v3
	v_mov_b32_e32 v6, 0x80
	s_and_saveexec_b64 s[6:7], vcc
	s_cbranch_execz .LBB9_298
; %bb.293:
	s_mov_b32 s8, 0x3bffffff
	v_cmp_lt_u32_e32 vcc, s8, v3
	s_mov_b64 s[8:9], 0
                                        ; implicit-def: $vgpr3
	s_and_saveexec_b64 s[10:11], vcc
	s_xor_b64 s[10:11], exec, s[10:11]
	s_cbranch_execz .LBB9_1005
; %bb.294:
	v_bfe_u32 v3, v2, 20, 1
	s_mov_b32 s12, 0x487ffff
	v_add3_u32 v3, v2, v3, s12
	s_mov_b64 s[8:9], exec
	v_lshrrev_b32_e32 v3, 20, v3
	s_or_saveexec_b64 s[10:11], s[10:11]
                                        ; implicit-def: $sgpr12
	s_xor_b64 exec, exec, s[10:11]
	s_cbranch_execnz .LBB9_1006
.LBB9_295:
	s_or_b64 exec, exec, s[10:11]
	v_mov_b32_e32 v6, s12
	s_and_saveexec_b64 s[10:11], s[8:9]
.LBB9_296:
	v_lshrrev_b32_e32 v2, 24, v2
	s_movk_i32 s8, 0x80
	v_and_or_b32 v6, v2, s8, v3
.LBB9_297:
	s_or_b64 exec, exec, s[10:11]
.LBB9_298:
	s_or_b64 exec, exec, s[6:7]
	global_store_byte v[4:5], v6, off
.LBB9_299:
	s_mov_b64 s[6:7], -1
.LBB9_300:
	s_mov_b64 s[8:9], 0
.LBB9_301:
	s_and_b64 vcc, exec, s[8:9]
	s_cbranch_vccz .LBB9_342
; %bb.302:
	v_mov_b32_e32 v2, 22
	v_cmp_gt_i16_sdwa s[10:11], v30, v2 src0_sel:BYTE_0 src1_sel:DWORD
	s_mov_b64 s[8:9], -1
	s_and_b64 vcc, exec, s[10:11]
	s_cbranch_vccz .LBB9_334
; %bb.303:
	v_mov_b32_e32 v2, 24
	v_cmp_lt_i16_sdwa s[8:9], v30, v2 src0_sel:BYTE_0 src1_sel:DWORD
	s_mov_b64 s[6:7], -1
	s_and_b64 vcc, exec, s[8:9]
	s_cbranch_vccnz .LBB9_323
; %bb.304:
	v_cmp_gt_i16_sdwa s[8:9], v30, v2 src0_sel:BYTE_0 src1_sel:DWORD
	s_and_b64 vcc, exec, s[8:9]
	s_cbranch_vccz .LBB9_312
; %bb.305:
	v_cvt_f32_f64_e32 v2, v[0:1]
	v_and_b32_e32 v3, 0x7fffffff, v2
	s_mov_b32 s6, 0x47800000
	v_cmp_gt_u32_e32 vcc, s6, v3
	v_mov_b32_e32 v6, 0x80
	s_and_saveexec_b64 s[6:7], vcc
	s_cbranch_execz .LBB9_311
; %bb.306:
	s_mov_b32 s8, 0x37ffffff
	v_cmp_lt_u32_e32 vcc, s8, v3
	s_mov_b64 s[8:9], 0
                                        ; implicit-def: $vgpr3
	s_and_saveexec_b64 s[10:11], vcc
	s_xor_b64 s[10:11], exec, s[10:11]
	s_cbranch_execz .LBB9_1012
; %bb.307:
	v_bfe_u32 v3, v2, 21, 1
	s_mov_b32 s12, 0x88fffff
	v_add3_u32 v3, v2, v3, s12
	s_mov_b64 s[8:9], exec
	v_lshrrev_b32_e32 v3, 21, v3
	s_or_saveexec_b64 s[10:11], s[10:11]
                                        ; implicit-def: $sgpr12
	s_xor_b64 exec, exec, s[10:11]
	s_cbranch_execnz .LBB9_1013
.LBB9_308:
	s_or_b64 exec, exec, s[10:11]
	v_mov_b32_e32 v6, s12
	s_and_saveexec_b64 s[10:11], s[8:9]
.LBB9_309:
	v_lshrrev_b32_e32 v2, 24, v2
	s_movk_i32 s8, 0x80
	v_and_or_b32 v6, v2, s8, v3
.LBB9_310:
	s_or_b64 exec, exec, s[10:11]
.LBB9_311:
	s_or_b64 exec, exec, s[6:7]
	s_mov_b64 s[6:7], 0
	global_store_byte v[4:5], v6, off
.LBB9_312:
	s_and_b64 vcc, exec, s[6:7]
	s_cbranch_vccz .LBB9_322
; %bb.313:
	v_cvt_f32_f64_e32 v2, v[0:1]
	v_and_b32_e32 v6, 0x7fffffff, v2
	s_mov_b32 s6, 0x43f00000
	v_cmp_gt_u32_e32 vcc, s6, v6
                                        ; implicit-def: $vgpr3
	s_and_saveexec_b64 s[6:7], vcc
	s_xor_b64 s[6:7], exec, s[6:7]
	s_cbranch_execz .LBB9_319
; %bb.314:
	s_mov_b32 s8, 0x3c7fffff
	v_cmp_lt_u32_e32 vcc, s8, v6
                                        ; implicit-def: $vgpr3
	s_and_saveexec_b64 s[8:9], vcc
	s_xor_b64 s[8:9], exec, s[8:9]
; %bb.315:
	v_bfe_u32 v3, v2, 20, 1
	s_mov_b32 s10, 0x407ffff
	v_add3_u32 v3, v2, v3, s10
	v_lshrrev_b32_e32 v6, 20, v3
	v_and_b32_e32 v3, 0xff00000, v3
	s_mov_b32 s10, 0x7f00000
	v_mov_b32_e32 v7, 0x7e
	v_cmp_ne_u32_e32 vcc, s10, v3
	v_cndmask_b32_e32 v3, v7, v6, vcc
; %bb.316:
	s_andn2_saveexec_b64 s[8:9], s[8:9]
; %bb.317:
	s_mov_b32 s10, 0x46800000
	v_add_f32_e64 v3, |v2|, s10
; %bb.318:
	s_or_b64 exec, exec, s[8:9]
                                        ; implicit-def: $vgpr6
.LBB9_319:
	s_andn2_saveexec_b64 s[6:7], s[6:7]
; %bb.320:
	s_mov_b32 s8, 0x7f800000
	v_mov_b32_e32 v3, 0x7e
	v_mov_b32_e32 v7, 0x7f
	v_cmp_lt_u32_e32 vcc, s8, v6
	v_cndmask_b32_e32 v3, v3, v7, vcc
; %bb.321:
	s_or_b64 exec, exec, s[6:7]
	v_lshrrev_b32_e32 v2, 24, v2
	s_movk_i32 s6, 0x80
	v_and_or_b32 v2, v2, s6, v3
	global_store_byte v[4:5], v2, off
.LBB9_322:
	s_mov_b64 s[6:7], 0
.LBB9_323:
	s_andn2_b64 vcc, exec, s[6:7]
	s_cbranch_vccnz .LBB9_333
; %bb.324:
	v_cvt_f32_f64_e32 v2, v[0:1]
	v_and_b32_e32 v6, 0x7fffffff, v2
	s_mov_b32 s6, 0x47800000
	v_cmp_gt_u32_e32 vcc, s6, v6
                                        ; implicit-def: $vgpr3
	s_and_saveexec_b64 s[6:7], vcc
	s_xor_b64 s[6:7], exec, s[6:7]
	s_cbranch_execz .LBB9_330
; %bb.325:
	s_mov_b32 s8, 0x387fffff
	v_cmp_lt_u32_e32 vcc, s8, v6
                                        ; implicit-def: $vgpr3
	s_and_saveexec_b64 s[8:9], vcc
	s_xor_b64 s[8:9], exec, s[8:9]
; %bb.326:
	v_bfe_u32 v3, v2, 21, 1
	s_mov_b32 s10, 0x80fffff
	v_add3_u32 v3, v2, v3, s10
	v_lshrrev_b32_e32 v3, 21, v3
; %bb.327:
	s_andn2_saveexec_b64 s[8:9], s[8:9]
; %bb.328:
	s_mov_b32 s10, 0x43000000
	v_add_f32_e64 v3, |v2|, s10
; %bb.329:
	s_or_b64 exec, exec, s[8:9]
                                        ; implicit-def: $vgpr6
.LBB9_330:
	s_andn2_saveexec_b64 s[6:7], s[6:7]
; %bb.331:
	s_mov_b32 s8, 0x7f800000
	v_mov_b32_e32 v3, 0x7c
	v_mov_b32_e32 v7, 0x7f
	v_cmp_lt_u32_e32 vcc, s8, v6
	v_cndmask_b32_e32 v3, v3, v7, vcc
; %bb.332:
	s_or_b64 exec, exec, s[6:7]
	v_lshrrev_b32_e32 v2, 24, v2
	s_movk_i32 s6, 0x80
	v_and_or_b32 v2, v2, s6, v3
	global_store_byte v[4:5], v2, off
.LBB9_333:
	s_mov_b64 s[8:9], 0
	s_mov_b64 s[6:7], -1
.LBB9_334:
	s_andn2_b64 vcc, exec, s[8:9]
	s_cbranch_vccnz .LBB9_342
; %bb.335:
	v_mov_b32_e32 v2, 14
	v_cmp_gt_i16_sdwa s[10:11], v30, v2 src0_sel:BYTE_0 src1_sel:DWORD
	s_mov_b64 s[8:9], -1
	s_and_b64 vcc, exec, s[10:11]
	s_cbranch_vccz .LBB9_339
; %bb.336:
	v_mov_b32_e32 v2, 15
	v_cmp_eq_u16_sdwa s[8:9], v30, v2 src0_sel:BYTE_0 src1_sel:DWORD
	s_mov_b64 s[4:5], -1
	s_and_b64 vcc, exec, s[8:9]
	s_cbranch_vccz .LBB9_338
; %bb.337:
	v_cvt_f32_f64_e32 v2, v[0:1]
	v_bfe_u32 v3, v2, 16, 1
	s_movk_i32 s4, 0x7fff
	v_add3_u32 v3, v2, v3, s4
	v_lshrrev_b32_e32 v3, 16, v3
	v_mov_b32_e32 v6, 0x7fc0
	v_cmp_o_f32_e32 vcc, v2, v2
	v_cndmask_b32_e32 v2, v6, v3, vcc
	global_store_short v[4:5], v2, off
	s_mov_b64 s[6:7], -1
	s_mov_b64 s[4:5], 0
.LBB9_338:
	s_mov_b64 s[8:9], 0
.LBB9_339:
	s_and_b64 vcc, exec, s[8:9]
	s_cbranch_vccz .LBB9_342
; %bb.340:
	v_mov_b32_e32 v2, 11
	v_cmp_eq_u16_sdwa s[8:9], v30, v2 src0_sel:BYTE_0 src1_sel:DWORD
	s_mov_b64 s[4:5], -1
	s_and_b64 vcc, exec, s[8:9]
	s_cbranch_vccz .LBB9_342
; %bb.341:
	v_cmp_neq_f64_e32 vcc, 0, v[0:1]
	s_mov_b64 s[4:5], 0
	v_cndmask_b32_e64 v2, 0, 1, vcc
	s_mov_b64 s[6:7], -1
	global_store_byte v[4:5], v2, off
.LBB9_342:
	s_mov_b64 s[8:9], 0
.LBB9_343:
	s_and_b64 vcc, exec, s[8:9]
	s_cbranch_vccz .LBB9_382
; %bb.344:
	v_mov_b32_e32 v2, 5
	v_cmp_lt_i16_sdwa s[8:9], v30, v2 src0_sel:BYTE_0 src1_sel:DWORD
	s_mov_b64 s[6:7], -1
	s_and_b64 vcc, exec, s[8:9]
	s_cbranch_vccnz .LBB9_365
; %bb.345:
	v_mov_b32_e32 v2, 8
	v_cmp_lt_i16_sdwa s[8:9], v30, v2 src0_sel:BYTE_0 src1_sel:DWORD
	s_and_b64 vcc, exec, s[8:9]
	s_cbranch_vccnz .LBB9_355
; %bb.346:
	v_mov_b32_e32 v2, 9
	v_cmp_lt_i16_sdwa s[8:9], v30, v2 src0_sel:BYTE_0 src1_sel:DWORD
	s_and_b64 vcc, exec, s[8:9]
	s_cbranch_vccnz .LBB9_352
; %bb.347:
	v_cmp_gt_i16_sdwa s[8:9], v30, v2 src0_sel:BYTE_0 src1_sel:DWORD
	s_and_b64 vcc, exec, s[8:9]
	s_cbranch_vccz .LBB9_349
; %bb.348:
	v_mov_b32_e32 v2, 0
	v_mov_b32_e32 v3, v2
	s_mov_b64 s[6:7], 0
	global_store_dwordx4 v[4:5], v[0:3], off
.LBB9_349:
	s_andn2_b64 vcc, exec, s[6:7]
	s_cbranch_vccnz .LBB9_351
; %bb.350:
	v_cvt_f32_f64_e32 v2, v[0:1]
	v_mov_b32_e32 v3, 0
	global_store_dwordx2 v[4:5], v[2:3], off
.LBB9_351:
	s_mov_b64 s[6:7], 0
.LBB9_352:
	s_andn2_b64 vcc, exec, s[6:7]
	s_cbranch_vccnz .LBB9_354
; %bb.353:
	v_cvt_f32_f64_e32 v2, v[0:1]
	v_cvt_f16_f32_e32 v2, v2
	global_store_dword v[4:5], v2, off
.LBB9_354:
	s_mov_b64 s[6:7], 0
.LBB9_355:
	s_andn2_b64 vcc, exec, s[6:7]
	s_cbranch_vccnz .LBB9_364
; %bb.356:
	v_mov_b32_e32 v2, 6
	v_cmp_lt_i16_sdwa s[8:9], v30, v2 src0_sel:BYTE_0 src1_sel:DWORD
	s_mov_b64 s[6:7], -1
	s_and_b64 vcc, exec, s[8:9]
	s_cbranch_vccnz .LBB9_362
; %bb.357:
	v_cmp_gt_i16_sdwa s[8:9], v30, v2 src0_sel:BYTE_0 src1_sel:DWORD
	s_and_b64 vcc, exec, s[8:9]
	s_cbranch_vccz .LBB9_359
; %bb.358:
	s_mov_b64 s[6:7], 0
	global_store_dwordx2 v[4:5], v[0:1], off
.LBB9_359:
	s_andn2_b64 vcc, exec, s[6:7]
	s_cbranch_vccnz .LBB9_361
; %bb.360:
	v_cvt_f32_f64_e32 v2, v[0:1]
	global_store_dword v[4:5], v2, off
.LBB9_361:
	s_mov_b64 s[6:7], 0
.LBB9_362:
	s_andn2_b64 vcc, exec, s[6:7]
	s_cbranch_vccnz .LBB9_364
; %bb.363:
	v_cvt_f32_f64_e32 v2, v[0:1]
	v_cvt_f16_f32_e32 v2, v2
	global_store_short v[4:5], v2, off
.LBB9_364:
	s_mov_b64 s[6:7], 0
.LBB9_365:
	s_andn2_b64 vcc, exec, s[6:7]
	s_cbranch_vccnz .LBB9_381
; %bb.366:
	v_mov_b32_e32 v2, 2
	v_cmp_lt_i16_sdwa s[8:9], v30, v2 src0_sel:BYTE_0 src1_sel:DWORD
	s_mov_b64 s[6:7], -1
	s_and_b64 vcc, exec, s[8:9]
	s_cbranch_vccnz .LBB9_376
; %bb.367:
	v_mov_b32_e32 v2, 3
	v_cmp_lt_i16_sdwa s[8:9], v30, v2 src0_sel:BYTE_0 src1_sel:DWORD
	s_and_b64 vcc, exec, s[8:9]
	s_cbranch_vccnz .LBB9_373
; %bb.368:
	v_cmp_gt_i16_sdwa s[8:9], v30, v2 src0_sel:BYTE_0 src1_sel:DWORD
	s_and_b64 vcc, exec, s[8:9]
	s_cbranch_vccz .LBB9_370
; %bb.369:
	v_trunc_f64_e32 v[2:3], v[0:1]
	s_movk_i32 s6, 0xffe0
	v_ldexp_f64 v[6:7], v[2:3], s6
	v_floor_f64_e32 v[6:7], v[6:7]
	v_fmac_f64_e32 v[2:3], 0xc1f00000, v[6:7]
	v_cvt_i32_f64_e32 v9, v[6:7]
	v_cvt_u32_f64_e32 v8, v[2:3]
	s_mov_b64 s[6:7], 0
	global_store_dwordx2 v[4:5], v[8:9], off
.LBB9_370:
	s_andn2_b64 vcc, exec, s[6:7]
	s_cbranch_vccnz .LBB9_372
; %bb.371:
	v_cvt_i32_f64_e32 v2, v[0:1]
	global_store_dword v[4:5], v2, off
.LBB9_372:
	s_mov_b64 s[6:7], 0
.LBB9_373:
	s_andn2_b64 vcc, exec, s[6:7]
	s_cbranch_vccnz .LBB9_375
; %bb.374:
	v_cvt_i32_f64_e32 v2, v[0:1]
	global_store_short v[4:5], v2, off
.LBB9_375:
	s_mov_b64 s[6:7], 0
.LBB9_376:
	s_andn2_b64 vcc, exec, s[6:7]
	s_cbranch_vccnz .LBB9_381
; %bb.377:
	v_mov_b32_e32 v2, 0
	v_cmp_gt_i16_sdwa s[8:9], v30, v2 src0_sel:BYTE_0 src1_sel:DWORD
	s_mov_b64 s[6:7], -1
	s_and_b64 vcc, exec, s[8:9]
	s_cbranch_vccz .LBB9_379
; %bb.378:
	v_cvt_i32_f64_e32 v2, v[0:1]
	s_mov_b64 s[6:7], 0
	global_store_byte v[4:5], v2, off
.LBB9_379:
	s_andn2_b64 vcc, exec, s[6:7]
	s_cbranch_vccnz .LBB9_381
; %bb.380:
	v_trunc_f64_e32 v[0:1], v[0:1]
	s_movk_i32 s6, 0xffe0
	v_ldexp_f64 v[2:3], v[0:1], s6
	v_floor_f64_e32 v[2:3], v[2:3]
	v_fmac_f64_e32 v[0:1], 0xc1f00000, v[2:3]
	v_cvt_u32_f64_e32 v0, v[0:1]
	global_store_byte v[4:5], v0, off
.LBB9_381:
	s_mov_b64 s[6:7], -1
.LBB9_382:
	s_andn2_b64 vcc, exec, s[6:7]
	s_cbranch_vccnz .LBB9_384
; %bb.383:
	v_add_u32_e32 v21, 0x80, v21
	s_mov_b64 s[6:7], -1
	s_branch .LBB9_385
.LBB9_384:
	s_mov_b64 s[6:7], 0
                                        ; implicit-def: $vgpr21
.LBB9_385:
	s_andn2_b64 s[8:9], s[46:47], exec
	s_and_b64 s[4:5], s[4:5], exec
	s_or_b64 s[52:53], s[8:9], s[4:5]
	s_orn2_b64 s[6:7], s[6:7], exec
.LBB9_386:
	s_or_b64 exec, exec, s[50:51]
	s_mov_b64 s[4:5], 0
	s_mov_b64 s[10:11], 0
                                        ; implicit-def: $vgpr6
                                        ; implicit-def: $vgpr4_vgpr5
                                        ; implicit-def: $vgpr0_vgpr1
	s_and_saveexec_b64 s[50:51], s[6:7]
	s_cbranch_execz .LBB9_466
; %bb.387:
	v_cmp_gt_i32_e32 vcc, s33, v21
	s_mov_b64 s[6:7], 0
	s_mov_b64 s[8:9], s[52:53]
                                        ; implicit-def: $vgpr6
                                        ; implicit-def: $vgpr4_vgpr5
                                        ; implicit-def: $vgpr0_vgpr1
	s_and_saveexec_b64 s[54:55], vcc
	s_cbranch_execz .LBB9_465
; %bb.388:
	v_mov_b32_e32 v0, s38
	v_mov_b32_e32 v1, s39
	;; [unrolled: 1-line block ×5, first 2 shown]
	s_getpc_b64 s[4:5]
	s_add_u32 s4, s4, _ZN2at6native6invokeIZZZNS0_12_GLOBAL__N_130modified_bessel_k0_kernel_cudaERNS_18TensorIteratorBaseEENKUlvE_clEvENKUlvE_clEvEUldE_i15function_traitsIS7_EEENT1_11result_typeERKT_PrKPcPKT0_PKN3c1010ScalarTypeEi@rel32@lo+4
	s_addc_u32 s5, s5, _ZN2at6native6invokeIZZZNS0_12_GLOBAL__N_130modified_bessel_k0_kernel_cudaERNS_18TensorIteratorBaseEENKUlvE_clEvENKUlvE_clEvEUldE_i15function_traitsIS7_EEENT1_11result_typeERKT_PrKPcPKT0_PKN3c1010ScalarTypeEi@rel32@hi+12
	s_swappc_b64 s[30:31], s[4:5]
	v_mul_lo_u32 v2, v21, s28
	v_ashrrev_i32_e32 v3, 31, v2
	v_mov_b32_e32 v5, s37
	v_add_co_u32_e32 v4, vcc, s36, v2
	v_addc_co_u32_e32 v5, vcc, v5, v3, vcc
	v_and_b32_e32 v6, 0xff, v30
	v_cmp_gt_i16_e32 vcc, 11, v6
	s_cbranch_vccnz .LBB9_462
; %bb.389:
	v_cmp_lt_i16_e32 vcc, 25, v6
	s_mov_b64 s[8:9], -1
	s_mov_b64 s[4:5], s[52:53]
	s_cbranch_vccz .LBB9_422
; %bb.390:
	v_cmp_lt_i16_e32 vcc, 28, v6
	s_mov_b64 s[6:7], -1
	s_mov_b64 s[4:5], s[52:53]
	s_cbranch_vccz .LBB9_406
; %bb.391:
	v_cmp_lt_i16_e32 vcc, 43, v6
	s_mov_b64 s[4:5], s[52:53]
	s_cbranch_vccz .LBB9_402
; %bb.392:
	v_cmp_lt_i16_e32 vcc, 45, v6
	s_mov_b64 s[4:5], s[52:53]
	s_cbranch_vccz .LBB9_396
; %bb.393:
	v_cmp_eq_u16_e32 vcc, 46, v6
	s_mov_b64 s[4:5], -1
	s_cbranch_vccz .LBB9_395
; %bb.394:
	v_cvt_f32_f64_e32 v2, v[0:1]
	v_bfe_u32 v3, v2, 16, 1
	s_movk_i32 s4, 0x7fff
	v_add3_u32 v3, v2, v3, s4
	v_lshrrev_b32_e32 v3, 16, v3
	v_mov_b32_e32 v7, 0x7fc0
	v_cmp_o_f32_e32 vcc, v2, v2
	v_cndmask_b32_e32 v2, v7, v3, vcc
	global_store_dword v[4:5], v2, off
	s_mov_b64 s[4:5], 0
.LBB9_395:
	s_mov_b64 s[6:7], 0
.LBB9_396:
	s_and_b64 vcc, exec, s[6:7]
	s_cbranch_vccz .LBB9_401
; %bb.397:
	v_cmp_eq_u16_e32 vcc, 44, v6
	s_mov_b64 s[4:5], -1
	s_cbranch_vccz .LBB9_401
; %bb.398:
	v_cvt_f32_f64_e32 v2, v[0:1]
	v_bfe_u32 v3, v2, 23, 8
	s_movk_i32 s4, 0xff
	v_cmp_ne_u32_e32 vcc, s4, v3
	v_mov_b32_e32 v7, 0xff
	s_and_saveexec_b64 s[6:7], vcc
; %bb.399:
	s_mov_b32 s4, 0x3fffff
	v_lshrrev_b32_e32 v7, 23, v2
	v_and_b32_e32 v8, 0x400000, v2
	v_and_or_b32 v2, v2, s4, v3
	v_cmp_ne_u32_e32 vcc, 0, v8
	v_cmp_ne_u32_e64 s[4:5], 0, v2
	s_and_b64 s[4:5], vcc, s[4:5]
	v_cndmask_b32_e64 v2, 0, 1, s[4:5]
	v_add_u32_e32 v7, v7, v2
; %bb.400:
	s_or_b64 exec, exec, s[6:7]
	s_mov_b64 s[4:5], 0
	global_store_byte v[4:5], v7, off
.LBB9_401:
	s_mov_b64 s[6:7], 0
.LBB9_402:
	s_and_b64 vcc, exec, s[6:7]
	s_cbranch_vccz .LBB9_405
; %bb.403:
	v_cmp_eq_u16_e32 vcc, 29, v6
	s_mov_b64 s[4:5], -1
	s_cbranch_vccz .LBB9_405
; %bb.404:
	v_trunc_f64_e32 v[2:3], v[0:1]
	s_movk_i32 s4, 0xffe0
	v_ldexp_f64 v[8:9], v[2:3], s4
	v_floor_f64_e32 v[8:9], v[8:9]
	v_fmac_f64_e32 v[2:3], 0xc1f00000, v[8:9]
	v_cvt_u32_f64_e32 v11, v[8:9]
	v_cvt_u32_f64_e32 v10, v[2:3]
	global_store_dwordx2 v[4:5], v[10:11], off
	s_mov_b64 s[4:5], 0
.LBB9_405:
	s_mov_b64 s[6:7], 0
.LBB9_406:
	s_and_b64 vcc, exec, s[6:7]
	s_cbranch_vccz .LBB9_421
; %bb.407:
	v_cmp_gt_i16_e32 vcc, 27, v6
	s_mov_b64 s[6:7], -1
	s_cbranch_vccnz .LBB9_413
; %bb.408:
	v_cmp_lt_i16_e32 vcc, 27, v6
	v_cvt_u32_f64_e32 v2, v[0:1]
	s_cbranch_vccz .LBB9_410
; %bb.409:
	s_mov_b64 s[6:7], 0
	global_store_dword v[4:5], v2, off
.LBB9_410:
	s_andn2_b64 vcc, exec, s[6:7]
	s_cbranch_vccnz .LBB9_412
; %bb.411:
	global_store_short v[4:5], v2, off
.LBB9_412:
	s_mov_b64 s[6:7], 0
.LBB9_413:
	s_andn2_b64 vcc, exec, s[6:7]
	s_cbranch_vccnz .LBB9_421
; %bb.414:
	v_cvt_f32_f64_e32 v2, v[0:1]
	v_and_b32_e32 v3, 0x7fffffff, v2
	s_mov_b32 s6, 0x43800000
	v_cmp_gt_u32_e32 vcc, s6, v3
	v_mov_b32_e32 v7, 0x80
	s_and_saveexec_b64 s[6:7], vcc
	s_cbranch_execz .LBB9_420
; %bb.415:
	s_mov_b32 s8, 0x3bffffff
	v_cmp_lt_u32_e32 vcc, s8, v3
	s_mov_b64 s[8:9], 0
                                        ; implicit-def: $vgpr3
	s_and_saveexec_b64 s[10:11], vcc
	s_xor_b64 s[10:11], exec, s[10:11]
	s_cbranch_execz .LBB9_1014
; %bb.416:
	v_bfe_u32 v3, v2, 20, 1
	s_mov_b32 s12, 0x487ffff
	v_add3_u32 v3, v2, v3, s12
	s_mov_b64 s[8:9], exec
	v_lshrrev_b32_e32 v3, 20, v3
	s_or_saveexec_b64 s[10:11], s[10:11]
                                        ; implicit-def: $sgpr12
	s_xor_b64 exec, exec, s[10:11]
	s_cbranch_execnz .LBB9_1015
.LBB9_417:
	s_or_b64 exec, exec, s[10:11]
	v_mov_b32_e32 v7, s12
	s_and_saveexec_b64 s[10:11], s[8:9]
.LBB9_418:
	v_lshrrev_b32_e32 v2, 24, v2
	s_movk_i32 s8, 0x80
	v_and_or_b32 v7, v2, s8, v3
.LBB9_419:
	s_or_b64 exec, exec, s[10:11]
.LBB9_420:
	s_or_b64 exec, exec, s[6:7]
	global_store_byte v[4:5], v7, off
.LBB9_421:
	s_mov_b64 s[8:9], 0
.LBB9_422:
	s_mov_b64 s[6:7], 0
	s_and_b64 vcc, exec, s[8:9]
	s_cbranch_vccz .LBB9_463
; %bb.423:
	v_cmp_lt_i16_e32 vcc, 22, v6
	s_mov_b64 s[8:9], -1
	s_cbranch_vccz .LBB9_455
; %bb.424:
	v_cmp_gt_i16_e32 vcc, 24, v6
	s_cbranch_vccnz .LBB9_444
; %bb.425:
	v_cmp_lt_i16_e32 vcc, 24, v6
	s_cbranch_vccz .LBB9_433
; %bb.426:
	v_cvt_f32_f64_e32 v2, v[0:1]
	v_and_b32_e32 v3, 0x7fffffff, v2
	s_mov_b32 s8, 0x47800000
	v_cmp_gt_u32_e32 vcc, s8, v3
	v_mov_b32_e32 v7, 0x80
	s_and_saveexec_b64 s[8:9], vcc
	s_cbranch_execz .LBB9_432
; %bb.427:
	s_mov_b32 s10, 0x37ffffff
	v_cmp_lt_u32_e32 vcc, s10, v3
	s_mov_b64 s[10:11], 0
                                        ; implicit-def: $vgpr3
	s_and_saveexec_b64 s[12:13], vcc
	s_xor_b64 s[12:13], exec, s[12:13]
	s_cbranch_execz .LBB9_1018
; %bb.428:
	v_bfe_u32 v3, v2, 21, 1
	s_mov_b32 s14, 0x88fffff
	v_add3_u32 v3, v2, v3, s14
	s_mov_b64 s[10:11], exec
	v_lshrrev_b32_e32 v3, 21, v3
	s_or_saveexec_b64 s[12:13], s[12:13]
                                        ; implicit-def: $sgpr14
	s_xor_b64 exec, exec, s[12:13]
	s_cbranch_execnz .LBB9_1019
.LBB9_429:
	s_or_b64 exec, exec, s[12:13]
	v_mov_b32_e32 v7, s14
	s_and_saveexec_b64 s[12:13], s[10:11]
.LBB9_430:
	v_lshrrev_b32_e32 v2, 24, v2
	s_movk_i32 s10, 0x80
	v_and_or_b32 v7, v2, s10, v3
.LBB9_431:
	s_or_b64 exec, exec, s[12:13]
.LBB9_432:
	s_or_b64 exec, exec, s[8:9]
	s_mov_b64 s[8:9], 0
	global_store_byte v[4:5], v7, off
.LBB9_433:
	s_and_b64 vcc, exec, s[8:9]
	s_cbranch_vccz .LBB9_443
; %bb.434:
	v_cvt_f32_f64_e32 v2, v[0:1]
	v_and_b32_e32 v7, 0x7fffffff, v2
	s_mov_b32 s8, 0x43f00000
	v_cmp_gt_u32_e32 vcc, s8, v7
                                        ; implicit-def: $vgpr3
	s_and_saveexec_b64 s[8:9], vcc
	s_xor_b64 s[8:9], exec, s[8:9]
	s_cbranch_execz .LBB9_440
; %bb.435:
	s_mov_b32 s10, 0x3c7fffff
	v_cmp_lt_u32_e32 vcc, s10, v7
                                        ; implicit-def: $vgpr3
	s_and_saveexec_b64 s[10:11], vcc
	s_xor_b64 s[10:11], exec, s[10:11]
; %bb.436:
	v_bfe_u32 v3, v2, 20, 1
	s_mov_b32 s12, 0x407ffff
	v_add3_u32 v3, v2, v3, s12
	v_lshrrev_b32_e32 v7, 20, v3
	v_and_b32_e32 v3, 0xff00000, v3
	s_mov_b32 s12, 0x7f00000
	v_mov_b32_e32 v8, 0x7e
	v_cmp_ne_u32_e32 vcc, s12, v3
	v_cndmask_b32_e32 v3, v8, v7, vcc
; %bb.437:
	s_andn2_saveexec_b64 s[10:11], s[10:11]
; %bb.438:
	s_mov_b32 s12, 0x46800000
	v_add_f32_e64 v3, |v2|, s12
; %bb.439:
	s_or_b64 exec, exec, s[10:11]
                                        ; implicit-def: $vgpr7
.LBB9_440:
	s_andn2_saveexec_b64 s[8:9], s[8:9]
; %bb.441:
	s_mov_b32 s10, 0x7f800000
	v_mov_b32_e32 v3, 0x7e
	v_mov_b32_e32 v8, 0x7f
	v_cmp_lt_u32_e32 vcc, s10, v7
	v_cndmask_b32_e32 v3, v3, v8, vcc
; %bb.442:
	s_or_b64 exec, exec, s[8:9]
	v_lshrrev_b32_e32 v2, 24, v2
	s_movk_i32 s8, 0x80
	v_and_or_b32 v2, v2, s8, v3
	global_store_byte v[4:5], v2, off
.LBB9_443:
	s_mov_b64 s[8:9], 0
.LBB9_444:
	s_andn2_b64 vcc, exec, s[8:9]
	s_cbranch_vccnz .LBB9_454
; %bb.445:
	v_cvt_f32_f64_e32 v2, v[0:1]
	v_and_b32_e32 v7, 0x7fffffff, v2
	s_mov_b32 s8, 0x47800000
	v_cmp_gt_u32_e32 vcc, s8, v7
                                        ; implicit-def: $vgpr3
	s_and_saveexec_b64 s[8:9], vcc
	s_xor_b64 s[8:9], exec, s[8:9]
	s_cbranch_execz .LBB9_451
; %bb.446:
	s_mov_b32 s10, 0x387fffff
	v_cmp_lt_u32_e32 vcc, s10, v7
                                        ; implicit-def: $vgpr3
	s_and_saveexec_b64 s[10:11], vcc
	s_xor_b64 s[10:11], exec, s[10:11]
; %bb.447:
	v_bfe_u32 v3, v2, 21, 1
	s_mov_b32 s12, 0x80fffff
	v_add3_u32 v3, v2, v3, s12
	v_lshrrev_b32_e32 v3, 21, v3
; %bb.448:
	s_andn2_saveexec_b64 s[10:11], s[10:11]
; %bb.449:
	s_mov_b32 s12, 0x43000000
	v_add_f32_e64 v3, |v2|, s12
; %bb.450:
	s_or_b64 exec, exec, s[10:11]
                                        ; implicit-def: $vgpr7
.LBB9_451:
	s_andn2_saveexec_b64 s[8:9], s[8:9]
; %bb.452:
	s_mov_b32 s10, 0x7f800000
	v_mov_b32_e32 v3, 0x7c
	v_mov_b32_e32 v8, 0x7f
	v_cmp_lt_u32_e32 vcc, s10, v7
	v_cndmask_b32_e32 v3, v3, v8, vcc
; %bb.453:
	s_or_b64 exec, exec, s[8:9]
	v_lshrrev_b32_e32 v2, 24, v2
	s_movk_i32 s8, 0x80
	v_and_or_b32 v2, v2, s8, v3
	global_store_byte v[4:5], v2, off
.LBB9_454:
	s_mov_b64 s[8:9], 0
.LBB9_455:
	s_andn2_b64 vcc, exec, s[8:9]
	s_mov_b64 s[8:9], 0
	s_cbranch_vccnz .LBB9_464
; %bb.456:
	v_cmp_lt_i16_e32 vcc, 14, v6
	s_mov_b64 s[10:11], -1
	s_cbranch_vccz .LBB9_460
; %bb.457:
	v_cmp_eq_u16_e32 vcc, 15, v6
	s_mov_b64 s[4:5], -1
	s_cbranch_vccz .LBB9_459
; %bb.458:
	v_cvt_f32_f64_e32 v2, v[0:1]
	v_bfe_u32 v3, v2, 16, 1
	s_movk_i32 s4, 0x7fff
	v_add3_u32 v3, v2, v3, s4
	v_lshrrev_b32_e32 v3, 16, v3
	v_mov_b32_e32 v7, 0x7fc0
	v_cmp_o_f32_e32 vcc, v2, v2
	v_cndmask_b32_e32 v2, v7, v3, vcc
	global_store_short v[4:5], v2, off
	s_mov_b64 s[4:5], 0
.LBB9_459:
	s_mov_b64 s[10:11], 0
.LBB9_460:
	s_and_b64 vcc, exec, s[10:11]
	s_cbranch_vccz .LBB9_464
; %bb.461:
	v_cmp_ne_u16_e32 vcc, 11, v6
	s_andn2_b64 s[4:5], s[4:5], exec
	s_and_b64 s[10:11], vcc, exec
	s_mov_b64 s[8:9], -1
	s_or_b64 s[4:5], s[4:5], s[10:11]
	s_branch .LBB9_464
.LBB9_462:
	s_mov_b64 s[8:9], 0
	s_mov_b64 s[6:7], -1
	s_mov_b64 s[4:5], s[52:53]
	s_branch .LBB9_464
.LBB9_463:
	s_mov_b64 s[8:9], 0
.LBB9_464:
	s_and_b64 s[10:11], s[6:7], exec
	s_and_b64 s[6:7], s[8:9], exec
	s_andn2_b64 s[8:9], s[52:53], exec
	s_and_b64 s[4:5], s[4:5], exec
	s_or_b64 s[8:9], s[8:9], s[4:5]
.LBB9_465:
	s_or_b64 exec, exec, s[54:55]
	s_and_b64 s[4:5], s[6:7], exec
	s_andn2_b64 s[6:7], s[52:53], exec
	s_and_b64 s[8:9], s[8:9], exec
	s_and_b64 s[10:11], s[10:11], exec
	s_or_b64 s[52:53], s[6:7], s[8:9]
.LBB9_466:
	s_or_b64 exec, exec, s[50:51]
	s_and_b64 s[6:7], s[10:11], exec
	s_andn2_b64 s[8:9], s[46:47], exec
	s_and_b64 s[10:11], s[52:53], exec
	s_and_b64 s[4:5], s[4:5], exec
	s_or_b64 s[46:47], s[8:9], s[10:11]
.LBB9_467:
	s_or_b64 exec, exec, s[48:49]
	s_and_b64 s[48:49], s[4:5], exec
	s_andn2_b64 s[4:5], s[42:43], exec
	s_and_b64 s[8:9], s[46:47], exec
	s_and_b64 s[6:7], s[6:7], exec
	s_or_b64 s[42:43], s[4:5], s[8:9]
	s_or_b64 exec, exec, s[44:45]
	s_mov_b64 s[4:5], 0
	s_and_saveexec_b64 s[8:9], s[42:43]
	s_cbranch_execz .LBB9_134
.LBB9_468:
	s_mov_b64 s[4:5], exec
	s_andn2_b64 s[48:49], s[48:49], exec
	s_trap 2
	s_or_b64 exec, exec, s[8:9]
	s_and_saveexec_b64 s[8:9], s[48:49]
	s_xor_b64 s[8:9], exec, s[8:9]
	s_cbranch_execnz .LBB9_135
.LBB9_469:
	s_or_b64 exec, exec, s[8:9]
	s_and_saveexec_b64 s[8:9], s[6:7]
	s_xor_b64 s[6:7], exec, s[8:9]
	s_cbranch_execz .LBB9_507
.LBB9_470:
	v_cmp_gt_i16_e32 vcc, 5, v6
	s_mov_b64 s[8:9], -1
	s_cbranch_vccnz .LBB9_491
; %bb.471:
	v_cmp_gt_i16_e32 vcc, 8, v6
	s_cbranch_vccnz .LBB9_481
; %bb.472:
	v_cmp_gt_i16_e32 vcc, 9, v6
	s_cbranch_vccnz .LBB9_478
; %bb.473:
	v_cmp_lt_i16_e32 vcc, 9, v6
	s_cbranch_vccz .LBB9_475
; %bb.474:
	v_mov_b32_e32 v2, 0
	v_mov_b32_e32 v3, v2
	s_mov_b64 s[8:9], 0
	global_store_dwordx4 v[4:5], v[0:3], off
.LBB9_475:
	s_andn2_b64 vcc, exec, s[8:9]
	s_cbranch_vccnz .LBB9_477
; %bb.476:
	v_cvt_f32_f64_e32 v2, v[0:1]
	v_mov_b32_e32 v3, 0
	global_store_dwordx2 v[4:5], v[2:3], off
.LBB9_477:
	s_mov_b64 s[8:9], 0
.LBB9_478:
	s_andn2_b64 vcc, exec, s[8:9]
	s_cbranch_vccnz .LBB9_480
; %bb.479:
	v_cvt_f32_f64_e32 v2, v[0:1]
	v_cvt_f16_f32_e32 v2, v2
	global_store_dword v[4:5], v2, off
.LBB9_480:
	s_mov_b64 s[8:9], 0
.LBB9_481:
	s_andn2_b64 vcc, exec, s[8:9]
	s_cbranch_vccnz .LBB9_490
; %bb.482:
	v_cmp_gt_i16_e32 vcc, 6, v6
	s_mov_b64 s[8:9], -1
	s_cbranch_vccnz .LBB9_488
; %bb.483:
	v_cmp_lt_i16_e32 vcc, 6, v6
	s_cbranch_vccz .LBB9_485
; %bb.484:
	s_mov_b64 s[8:9], 0
	global_store_dwordx2 v[4:5], v[0:1], off
.LBB9_485:
	s_andn2_b64 vcc, exec, s[8:9]
	s_cbranch_vccnz .LBB9_487
; %bb.486:
	v_cvt_f32_f64_e32 v2, v[0:1]
	global_store_dword v[4:5], v2, off
.LBB9_487:
	s_mov_b64 s[8:9], 0
.LBB9_488:
	s_andn2_b64 vcc, exec, s[8:9]
	s_cbranch_vccnz .LBB9_490
; %bb.489:
	v_cvt_f32_f64_e32 v2, v[0:1]
	v_cvt_f16_f32_e32 v2, v2
	global_store_short v[4:5], v2, off
.LBB9_490:
	s_mov_b64 s[8:9], 0
.LBB9_491:
	s_andn2_b64 vcc, exec, s[8:9]
	s_cbranch_vccnz .LBB9_507
; %bb.492:
	v_cmp_gt_i16_e32 vcc, 2, v6
	s_mov_b64 s[8:9], -1
	s_cbranch_vccnz .LBB9_502
; %bb.493:
	v_cmp_gt_i16_e32 vcc, 3, v6
	s_cbranch_vccnz .LBB9_499
; %bb.494:
	v_cmp_lt_i16_e32 vcc, 3, v6
	s_cbranch_vccz .LBB9_496
; %bb.495:
	v_trunc_f64_e32 v[2:3], v[0:1]
	s_movk_i32 s8, 0xffe0
	v_ldexp_f64 v[8:9], v[2:3], s8
	v_floor_f64_e32 v[8:9], v[8:9]
	v_fmac_f64_e32 v[2:3], 0xc1f00000, v[8:9]
	v_cvt_i32_f64_e32 v11, v[8:9]
	v_cvt_u32_f64_e32 v10, v[2:3]
	s_mov_b64 s[8:9], 0
	global_store_dwordx2 v[4:5], v[10:11], off
.LBB9_496:
	s_andn2_b64 vcc, exec, s[8:9]
	s_cbranch_vccnz .LBB9_498
; %bb.497:
	v_cvt_i32_f64_e32 v2, v[0:1]
	global_store_dword v[4:5], v2, off
.LBB9_498:
	s_mov_b64 s[8:9], 0
.LBB9_499:
	s_andn2_b64 vcc, exec, s[8:9]
	s_cbranch_vccnz .LBB9_501
; %bb.500:
	v_cvt_i32_f64_e32 v2, v[0:1]
	global_store_short v[4:5], v2, off
.LBB9_501:
	s_mov_b64 s[8:9], 0
.LBB9_502:
	s_andn2_b64 vcc, exec, s[8:9]
	s_cbranch_vccnz .LBB9_507
; %bb.503:
	v_cmp_lt_i16_e32 vcc, 0, v6
	s_mov_b64 s[8:9], -1
	s_cbranch_vccz .LBB9_505
; %bb.504:
	v_cvt_i32_f64_e32 v2, v[0:1]
	s_mov_b64 s[8:9], 0
	global_store_byte v[4:5], v2, off
.LBB9_505:
	s_andn2_b64 vcc, exec, s[8:9]
	s_cbranch_vccnz .LBB9_507
; %bb.506:
	v_trunc_f64_e32 v[0:1], v[0:1]
	s_movk_i32 s8, 0xffe0
	v_ldexp_f64 v[2:3], v[0:1], s8
	v_floor_f64_e32 v[2:3], v[2:3]
	v_fmac_f64_e32 v[0:1], 0xc1f00000, v[2:3]
	v_cvt_u32_f64_e32 v0, v[0:1]
	global_store_byte v[4:5], v0, off
.LBB9_507:
	s_or_b64 exec, exec, s[6:7]
	s_and_b64 s[42:43], s[4:5], exec
                                        ; implicit-def: $vgpr30
                                        ; implicit-def: $vgpr21
                                        ; implicit-def: $vgpr28
                                        ; implicit-def: $vgpr29
.LBB9_508:
	s_or_saveexec_b64 s[40:41], s[40:41]
	s_mov_b64 s[4:5], 0
                                        ; implicit-def: $vgpr6
                                        ; implicit-def: $vgpr4_vgpr5
                                        ; implicit-def: $vgpr0_vgpr1
	s_xor_b64 exec, exec, s[40:41]
	s_cbranch_execz .LBB9_959
; %bb.509:
	v_mov_b32_e32 v0, s38
	v_mov_b32_e32 v1, s39
	;; [unrolled: 1-line block ×5, first 2 shown]
	v_add_u32_e32 v22, 0x80, v21
	v_add_u32_e32 v23, 0x100, v21
	s_getpc_b64 s[34:35]
	s_add_u32 s34, s34, _ZN2at6native6invokeIZZZNS0_12_GLOBAL__N_130modified_bessel_k0_kernel_cudaERNS_18TensorIteratorBaseEENKUlvE_clEvENKUlvE_clEvEUldE_i15function_traitsIS7_EEENT1_11result_typeERKT_PrKPcPKT0_PKN3c1010ScalarTypeEi@rel32@lo+4
	s_addc_u32 s35, s35, _ZN2at6native6invokeIZZZNS0_12_GLOBAL__N_130modified_bessel_k0_kernel_cudaERNS_18TensorIteratorBaseEENKUlvE_clEvENKUlvE_clEvEUldE_i15function_traitsIS7_EEENT1_11result_typeERKT_PrKPcPKT0_PKN3c1010ScalarTypeEi@rel32@hi+12
	s_swappc_b64 s[30:31], s[34:35]
	v_mov_b32_e32 v26, v0
	v_mov_b32_e32 v27, v1
	v_mov_b32_e32 v0, s38
	v_mov_b32_e32 v1, s39
	v_mov_b32_e32 v2, s29
	v_mov_b32_e32 v3, v28
	v_mov_b32_e32 v4, v22
	s_swappc_b64 s[30:31], s[34:35]
	v_mov_b32_e32 v24, v0
	v_mov_b32_e32 v25, v1
	v_mov_b32_e32 v0, s38
	v_mov_b32_e32 v1, s39
	v_mov_b32_e32 v2, s29
	v_mov_b32_e32 v3, v28
	v_mov_b32_e32 v4, v23
	;; [unrolled: 8-line block ×3, first 2 shown]
	s_swappc_b64 s[30:31], s[34:35]
	v_mul_lo_u32 v4, s28, v21
	v_ashrrev_i32_e32 v3, 31, v4
	v_mov_b32_e32 v5, s37
	v_add_co_u32_e32 v2, vcc, s36, v4
	v_addc_co_u32_e32 v3, vcc, v5, v3, vcc
	v_mov_b32_e32 v5, 11
	v_cmp_lt_i16_sdwa s[4:5], v30, v5 src0_sel:BYTE_0 src1_sel:DWORD
	s_and_b64 vcc, exec, s[4:5]
	s_cbranch_vccnz .LBB9_516
; %bb.510:
	v_mov_b32_e32 v5, 25
	v_cmp_gt_i16_sdwa s[4:5], v30, v5 src0_sel:BYTE_0 src1_sel:DWORD
	s_mov_b64 s[6:7], -1
	s_mov_b64 s[8:9], 0
	s_and_b64 vcc, exec, s[4:5]
	s_mov_b64 s[10:11], 0
	s_mov_b64 s[4:5], 0
	s_cbranch_vccz .LBB9_546
; %bb.511:
	v_mov_b32_e32 v5, 28
	v_cmp_gt_i16_sdwa s[4:5], v30, v5 src0_sel:BYTE_0 src1_sel:DWORD
	s_and_b64 vcc, exec, s[4:5]
	s_cbranch_vccz .LBB9_518
; %bb.512:
	v_mov_b32_e32 v5, 43
	v_cmp_gt_i16_sdwa s[4:5], v30, v5 src0_sel:BYTE_0 src1_sel:DWORD
	s_and_b64 vcc, exec, s[4:5]
	s_cbranch_vccz .LBB9_519
; %bb.513:
	v_mov_b32_e32 v5, 45
	v_cmp_gt_i16_sdwa s[4:5], v30, v5 src0_sel:BYTE_0 src1_sel:DWORD
	s_and_b64 vcc, exec, s[4:5]
	s_cbranch_vccz .LBB9_520
; %bb.514:
	v_mov_b32_e32 v5, 46
	v_cmp_eq_u16_sdwa s[10:11], v30, v5 src0_sel:BYTE_0 src1_sel:DWORD
	s_mov_b64 s[4:5], -1
	s_mov_b64 s[6:7], 0
	s_and_b64 vcc, exec, s[10:11]
	s_mov_b64 s[10:11], 0
	s_cbranch_vccz .LBB9_521
; %bb.515:
	v_cvt_f32_f64_e32 v5, v[26:27]
	v_bfe_u32 v6, v5, 16, 1
	s_movk_i32 s4, 0x7fff
	v_add3_u32 v6, v5, v6, s4
	v_lshrrev_b32_e32 v6, 16, v6
	v_mov_b32_e32 v7, 0x7fc0
	v_cmp_o_f32_e32 vcc, v5, v5
	v_cndmask_b32_e32 v5, v7, v6, vcc
	global_store_dword v[2:3], v5, off
	s_mov_b64 s[4:5], 0
	s_mov_b64 s[10:11], -1
	s_branch .LBB9_521
.LBB9_516:
	s_mov_b64 s[10:11], 0
	s_mov_b64 s[6:7], s[42:43]
	s_cbranch_execnz .LBB9_590
.LBB9_517:
	s_andn2_b64 vcc, exec, s[10:11]
	s_cbranch_vccz .LBB9_628
	s_branch .LBB9_957
.LBB9_518:
	s_mov_b64 s[4:5], 0
	s_and_b64 vcc, exec, s[6:7]
	s_cbranch_vccz .LBB9_545
	s_branch .LBB9_530
.LBB9_519:
	s_mov_b64 s[4:5], 0
	s_and_b64 vcc, exec, s[6:7]
	s_cbranch_vccnz .LBB9_527
	s_branch .LBB9_529
.LBB9_520:
	s_mov_b64 s[4:5], 0
.LBB9_521:
	s_and_b64 vcc, exec, s[6:7]
	s_cbranch_vccz .LBB9_526
; %bb.522:
	v_mov_b32_e32 v5, 44
	v_cmp_eq_u16_sdwa s[6:7], v30, v5 src0_sel:BYTE_0 src1_sel:DWORD
	s_mov_b64 s[4:5], -1
	s_and_b64 vcc, exec, s[6:7]
	s_cbranch_vccz .LBB9_526
; %bb.523:
	v_cvt_f32_f64_e32 v5, v[26:27]
	v_bfe_u32 v6, v5, 23, 8
	s_movk_i32 s4, 0xff
	v_cmp_ne_u32_e32 vcc, s4, v6
	v_mov_b32_e32 v7, 0xff
	s_and_saveexec_b64 s[6:7], vcc
; %bb.524:
	s_mov_b32 s4, 0x3fffff
	v_lshrrev_b32_e32 v7, 23, v5
	v_and_b32_e32 v8, 0x400000, v5
	v_and_or_b32 v5, v5, s4, v6
	v_cmp_ne_u32_e32 vcc, 0, v8
	v_cmp_ne_u32_e64 s[4:5], 0, v5
	s_and_b64 s[4:5], vcc, s[4:5]
	v_cndmask_b32_e64 v5, 0, 1, s[4:5]
	v_add_u32_e32 v7, v7, v5
; %bb.525:
	s_or_b64 exec, exec, s[6:7]
	s_mov_b64 s[4:5], 0
	s_mov_b64 s[10:11], -1
	global_store_byte v[2:3], v7, off
.LBB9_526:
	s_branch .LBB9_529
.LBB9_527:
	v_mov_b32_e32 v5, 29
	v_cmp_eq_u16_sdwa s[6:7], v30, v5 src0_sel:BYTE_0 src1_sel:DWORD
	s_mov_b64 s[4:5], -1
	s_and_b64 vcc, exec, s[6:7]
	s_cbranch_vccz .LBB9_529
; %bb.528:
	v_trunc_f64_e32 v[6:7], v[26:27]
	s_movk_i32 s4, 0xffe0
	v_ldexp_f64 v[8:9], v[6:7], s4
	v_floor_f64_e32 v[8:9], v[8:9]
	v_fmac_f64_e32 v[6:7], 0xc1f00000, v[8:9]
	v_cvt_u32_f64_e32 v11, v[8:9]
	v_cvt_u32_f64_e32 v10, v[6:7]
	global_store_dwordx2 v[2:3], v[10:11], off
	s_mov_b64 s[4:5], 0
	s_mov_b64 s[10:11], -1
.LBB9_529:
	s_branch .LBB9_545
.LBB9_530:
	v_mov_b32_e32 v5, 27
	v_cmp_lt_i16_sdwa s[10:11], v30, v5 src0_sel:BYTE_0 src1_sel:DWORD
	s_mov_b64 s[6:7], -1
	s_and_b64 vcc, exec, s[10:11]
	s_cbranch_vccnz .LBB9_536
; %bb.531:
	v_cmp_gt_i16_sdwa s[10:11], v30, v5 src0_sel:BYTE_0 src1_sel:DWORD
	s_and_b64 vcc, exec, s[10:11]
	v_cvt_u32_f64_e32 v5, v[26:27]
	s_cbranch_vccz .LBB9_533
; %bb.532:
	s_mov_b64 s[6:7], 0
	global_store_dword v[2:3], v5, off
.LBB9_533:
	s_andn2_b64 vcc, exec, s[6:7]
	s_cbranch_vccnz .LBB9_535
; %bb.534:
	global_store_short v[2:3], v5, off
.LBB9_535:
	s_mov_b64 s[6:7], 0
.LBB9_536:
	s_andn2_b64 vcc, exec, s[6:7]
	s_cbranch_vccnz .LBB9_544
; %bb.537:
	v_cvt_f32_f64_e32 v5, v[26:27]
	v_and_b32_e32 v6, 0x7fffffff, v5
	s_mov_b32 s6, 0x43800000
	v_cmp_gt_u32_e32 vcc, s6, v6
	v_mov_b32_e32 v7, 0x80
	s_and_saveexec_b64 s[6:7], vcc
	s_cbranch_execz .LBB9_543
; %bb.538:
	s_mov_b32 s10, 0x3bffffff
	v_cmp_lt_u32_e32 vcc, s10, v6
	s_mov_b64 s[10:11], 0
                                        ; implicit-def: $vgpr6
	s_and_saveexec_b64 s[12:13], vcc
	s_xor_b64 s[12:13], exec, s[12:13]
	s_cbranch_execz .LBB9_638
; %bb.539:
	v_bfe_u32 v6, v5, 20, 1
	s_mov_b32 s14, 0x487ffff
	v_add3_u32 v6, v5, v6, s14
	s_mov_b64 s[10:11], exec
	v_lshrrev_b32_e32 v6, 20, v6
	s_or_saveexec_b64 s[12:13], s[12:13]
                                        ; implicit-def: $sgpr14
	s_xor_b64 exec, exec, s[12:13]
	s_cbranch_execnz .LBB9_639
.LBB9_540:
	s_or_b64 exec, exec, s[12:13]
	v_mov_b32_e32 v7, s14
	s_and_saveexec_b64 s[12:13], s[10:11]
.LBB9_541:
	v_lshrrev_b32_e32 v5, 24, v5
	s_movk_i32 s10, 0x80
	v_and_or_b32 v7, v5, s10, v6
.LBB9_542:
	s_or_b64 exec, exec, s[12:13]
.LBB9_543:
	s_or_b64 exec, exec, s[6:7]
	global_store_byte v[2:3], v7, off
.LBB9_544:
	s_mov_b64 s[10:11], -1
.LBB9_545:
	s_mov_b64 s[6:7], 0
.LBB9_546:
	s_and_b64 vcc, exec, s[6:7]
	s_cbranch_vccz .LBB9_586
; %bb.547:
	v_mov_b32_e32 v5, 22
	v_cmp_gt_i16_sdwa s[8:9], v30, v5 src0_sel:BYTE_0 src1_sel:DWORD
	s_mov_b64 s[6:7], -1
	s_and_b64 vcc, exec, s[8:9]
	s_cbranch_vccz .LBB9_579
; %bb.548:
	v_mov_b32_e32 v5, 24
	v_cmp_lt_i16_sdwa s[8:9], v30, v5 src0_sel:BYTE_0 src1_sel:DWORD
	s_and_b64 vcc, exec, s[8:9]
	s_cbranch_vccnz .LBB9_568
; %bb.549:
	v_cmp_gt_i16_sdwa s[8:9], v30, v5 src0_sel:BYTE_0 src1_sel:DWORD
	s_and_b64 vcc, exec, s[8:9]
	s_cbranch_vccz .LBB9_557
; %bb.550:
	v_cvt_f32_f64_e32 v5, v[26:27]
	v_and_b32_e32 v6, 0x7fffffff, v5
	s_mov_b32 s6, 0x47800000
	v_cmp_gt_u32_e32 vcc, s6, v6
	v_mov_b32_e32 v7, 0x80
	s_and_saveexec_b64 s[6:7], vcc
	s_cbranch_execz .LBB9_556
; %bb.551:
	s_mov_b32 s8, 0x37ffffff
	v_cmp_lt_u32_e32 vcc, s8, v6
	s_mov_b64 s[8:9], 0
                                        ; implicit-def: $vgpr6
	s_and_saveexec_b64 s[10:11], vcc
	s_xor_b64 s[10:11], exec, s[10:11]
	s_cbranch_execz .LBB9_642
; %bb.552:
	v_bfe_u32 v6, v5, 21, 1
	s_mov_b32 s12, 0x88fffff
	v_add3_u32 v6, v5, v6, s12
	s_mov_b64 s[8:9], exec
	v_lshrrev_b32_e32 v6, 21, v6
	s_or_saveexec_b64 s[10:11], s[10:11]
                                        ; implicit-def: $sgpr12
	s_xor_b64 exec, exec, s[10:11]
	s_cbranch_execnz .LBB9_643
.LBB9_553:
	s_or_b64 exec, exec, s[10:11]
	v_mov_b32_e32 v7, s12
	s_and_saveexec_b64 s[10:11], s[8:9]
.LBB9_554:
	v_lshrrev_b32_e32 v5, 24, v5
	s_movk_i32 s8, 0x80
	v_and_or_b32 v7, v5, s8, v6
.LBB9_555:
	s_or_b64 exec, exec, s[10:11]
.LBB9_556:
	s_or_b64 exec, exec, s[6:7]
	s_mov_b64 s[6:7], 0
	global_store_byte v[2:3], v7, off
.LBB9_557:
	s_and_b64 vcc, exec, s[6:7]
	s_cbranch_vccz .LBB9_567
; %bb.558:
	v_cvt_f32_f64_e32 v5, v[26:27]
	v_and_b32_e32 v7, 0x7fffffff, v5
	s_mov_b32 s6, 0x43f00000
	v_cmp_gt_u32_e32 vcc, s6, v7
                                        ; implicit-def: $vgpr6
	s_and_saveexec_b64 s[6:7], vcc
	s_xor_b64 s[6:7], exec, s[6:7]
	s_cbranch_execz .LBB9_564
; %bb.559:
	s_mov_b32 s8, 0x3c7fffff
	v_cmp_lt_u32_e32 vcc, s8, v7
                                        ; implicit-def: $vgpr6
	s_and_saveexec_b64 s[8:9], vcc
	s_xor_b64 s[8:9], exec, s[8:9]
; %bb.560:
	v_bfe_u32 v6, v5, 20, 1
	s_mov_b32 s10, 0x407ffff
	v_add3_u32 v6, v5, v6, s10
	v_lshrrev_b32_e32 v7, 20, v6
	v_and_b32_e32 v6, 0xff00000, v6
	s_mov_b32 s10, 0x7f00000
	v_mov_b32_e32 v8, 0x7e
	v_cmp_ne_u32_e32 vcc, s10, v6
	v_cndmask_b32_e32 v6, v8, v7, vcc
; %bb.561:
	s_andn2_saveexec_b64 s[8:9], s[8:9]
; %bb.562:
	s_mov_b32 s10, 0x46800000
	v_add_f32_e64 v6, |v5|, s10
; %bb.563:
	s_or_b64 exec, exec, s[8:9]
                                        ; implicit-def: $vgpr7
.LBB9_564:
	s_andn2_saveexec_b64 s[6:7], s[6:7]
; %bb.565:
	s_mov_b32 s8, 0x7f800000
	v_mov_b32_e32 v6, 0x7e
	v_mov_b32_e32 v8, 0x7f
	v_cmp_lt_u32_e32 vcc, s8, v7
	v_cndmask_b32_e32 v6, v6, v8, vcc
; %bb.566:
	s_or_b64 exec, exec, s[6:7]
	v_lshrrev_b32_e32 v5, 24, v5
	s_movk_i32 s6, 0x80
	v_and_or_b32 v5, v5, s6, v6
	global_store_byte v[2:3], v5, off
.LBB9_567:
	s_mov_b64 s[6:7], 0
.LBB9_568:
	s_andn2_b64 vcc, exec, s[6:7]
	s_cbranch_vccnz .LBB9_578
; %bb.569:
	v_cvt_f32_f64_e32 v5, v[26:27]
	v_and_b32_e32 v7, 0x7fffffff, v5
	s_mov_b32 s6, 0x47800000
	v_cmp_gt_u32_e32 vcc, s6, v7
                                        ; implicit-def: $vgpr6
	s_and_saveexec_b64 s[6:7], vcc
	s_xor_b64 s[6:7], exec, s[6:7]
	s_cbranch_execz .LBB9_575
; %bb.570:
	s_mov_b32 s8, 0x387fffff
	v_cmp_lt_u32_e32 vcc, s8, v7
                                        ; implicit-def: $vgpr6
	s_and_saveexec_b64 s[8:9], vcc
	s_xor_b64 s[8:9], exec, s[8:9]
; %bb.571:
	v_bfe_u32 v6, v5, 21, 1
	s_mov_b32 s10, 0x80fffff
	v_add3_u32 v6, v5, v6, s10
	v_lshrrev_b32_e32 v6, 21, v6
; %bb.572:
	s_andn2_saveexec_b64 s[8:9], s[8:9]
; %bb.573:
	s_mov_b32 s10, 0x43000000
	v_add_f32_e64 v6, |v5|, s10
; %bb.574:
	s_or_b64 exec, exec, s[8:9]
                                        ; implicit-def: $vgpr7
.LBB9_575:
	s_andn2_saveexec_b64 s[6:7], s[6:7]
; %bb.576:
	s_mov_b32 s8, 0x7f800000
	v_mov_b32_e32 v6, 0x7c
	v_mov_b32_e32 v8, 0x7f
	v_cmp_lt_u32_e32 vcc, s8, v7
	v_cndmask_b32_e32 v6, v6, v8, vcc
; %bb.577:
	s_or_b64 exec, exec, s[6:7]
	v_lshrrev_b32_e32 v5, 24, v5
	s_movk_i32 s6, 0x80
	v_and_or_b32 v5, v5, s6, v6
	global_store_byte v[2:3], v5, off
.LBB9_578:
	s_mov_b64 s[6:7], 0
	s_mov_b64 s[10:11], -1
.LBB9_579:
	s_andn2_b64 vcc, exec, s[6:7]
	s_mov_b64 s[8:9], 0
	s_cbranch_vccnz .LBB9_586
; %bb.580:
	v_mov_b32_e32 v5, 14
	v_cmp_gt_i16_sdwa s[8:9], v30, v5 src0_sel:BYTE_0 src1_sel:DWORD
	s_mov_b64 s[6:7], -1
	s_and_b64 vcc, exec, s[8:9]
	s_cbranch_vccz .LBB9_584
; %bb.581:
	v_mov_b32_e32 v5, 15
	v_cmp_eq_u16_sdwa s[6:7], v30, v5 src0_sel:BYTE_0 src1_sel:DWORD
	s_mov_b64 s[4:5], -1
	s_and_b64 vcc, exec, s[6:7]
	s_cbranch_vccz .LBB9_583
; %bb.582:
	v_cvt_f32_f64_e32 v5, v[26:27]
	v_bfe_u32 v6, v5, 16, 1
	s_movk_i32 s4, 0x7fff
	v_add3_u32 v6, v5, v6, s4
	v_lshrrev_b32_e32 v6, 16, v6
	v_mov_b32_e32 v7, 0x7fc0
	v_cmp_o_f32_e32 vcc, v5, v5
	v_cndmask_b32_e32 v5, v7, v6, vcc
	global_store_short v[2:3], v5, off
	s_mov_b64 s[4:5], 0
	s_mov_b64 s[10:11], -1
.LBB9_583:
	s_mov_b64 s[6:7], 0
.LBB9_584:
	s_mov_b64 s[8:9], 0
	s_and_b64 vcc, exec, s[6:7]
	s_cbranch_vccz .LBB9_586
; %bb.585:
	v_mov_b32_e32 v5, 11
	v_cmp_ne_u16_sdwa s[4:5], v30, v5 src0_sel:BYTE_0 src1_sel:DWORD
	s_mov_b64 s[8:9], -1
.LBB9_586:
	s_and_b64 vcc, exec, s[4:5]
	s_mov_b64 s[6:7], s[42:43]
	s_cbranch_vccnz .LBB9_641
; %bb.587:
	s_andn2_b64 vcc, exec, s[8:9]
	s_cbranch_vccnz .LBB9_589
.LBB9_588:
	v_cmp_neq_f64_e32 vcc, 0, v[26:27]
	v_cndmask_b32_e64 v5, 0, 1, vcc
	global_store_byte v[2:3], v5, off
	s_mov_b64 s[10:11], -1
.LBB9_589:
	s_branch .LBB9_517
.LBB9_590:
	v_mov_b32_e32 v5, 5
	v_cmp_lt_i16_sdwa s[8:9], v30, v5 src0_sel:BYTE_0 src1_sel:DWORD
	s_mov_b64 s[4:5], -1
	s_and_b64 vcc, exec, s[8:9]
	s_cbranch_vccnz .LBB9_611
; %bb.591:
	v_mov_b32_e32 v5, 8
	v_cmp_lt_i16_sdwa s[8:9], v30, v5 src0_sel:BYTE_0 src1_sel:DWORD
	s_and_b64 vcc, exec, s[8:9]
	s_cbranch_vccnz .LBB9_601
; %bb.592:
	v_mov_b32_e32 v5, 9
	v_cmp_lt_i16_sdwa s[8:9], v30, v5 src0_sel:BYTE_0 src1_sel:DWORD
	s_and_b64 vcc, exec, s[8:9]
	s_cbranch_vccnz .LBB9_598
; %bb.593:
	v_cmp_gt_i16_sdwa s[8:9], v30, v5 src0_sel:BYTE_0 src1_sel:DWORD
	s_and_b64 vcc, exec, s[8:9]
	s_cbranch_vccz .LBB9_595
; %bb.594:
	v_mov_b32_e32 v28, 0
	v_mov_b32_e32 v29, v28
	global_store_dwordx4 v[2:3], v[26:29], off
	s_mov_b64 s[4:5], 0
.LBB9_595:
	s_andn2_b64 vcc, exec, s[4:5]
	s_cbranch_vccnz .LBB9_597
; %bb.596:
	v_cvt_f32_f64_e32 v6, v[26:27]
	v_mov_b32_e32 v7, 0
	global_store_dwordx2 v[2:3], v[6:7], off
.LBB9_597:
	s_mov_b64 s[4:5], 0
.LBB9_598:
	s_andn2_b64 vcc, exec, s[4:5]
	s_cbranch_vccnz .LBB9_600
; %bb.599:
	v_cvt_f32_f64_e32 v5, v[26:27]
	v_cvt_f16_f32_e32 v5, v5
	global_store_dword v[2:3], v5, off
.LBB9_600:
	s_mov_b64 s[4:5], 0
.LBB9_601:
	s_andn2_b64 vcc, exec, s[4:5]
	s_cbranch_vccnz .LBB9_610
; %bb.602:
	v_mov_b32_e32 v5, 6
	v_cmp_lt_i16_sdwa s[8:9], v30, v5 src0_sel:BYTE_0 src1_sel:DWORD
	s_mov_b64 s[4:5], -1
	s_and_b64 vcc, exec, s[8:9]
	s_cbranch_vccnz .LBB9_608
; %bb.603:
	v_cmp_gt_i16_sdwa s[8:9], v30, v5 src0_sel:BYTE_0 src1_sel:DWORD
	s_and_b64 vcc, exec, s[8:9]
	s_cbranch_vccz .LBB9_605
; %bb.604:
	global_store_dwordx2 v[2:3], v[26:27], off
	s_mov_b64 s[4:5], 0
.LBB9_605:
	s_andn2_b64 vcc, exec, s[4:5]
	s_cbranch_vccnz .LBB9_607
; %bb.606:
	v_cvt_f32_f64_e32 v5, v[26:27]
	global_store_dword v[2:3], v5, off
.LBB9_607:
	s_mov_b64 s[4:5], 0
.LBB9_608:
	s_andn2_b64 vcc, exec, s[4:5]
	s_cbranch_vccnz .LBB9_610
; %bb.609:
	v_cvt_f32_f64_e32 v5, v[26:27]
	v_cvt_f16_f32_e32 v5, v5
	global_store_short v[2:3], v5, off
.LBB9_610:
	s_mov_b64 s[4:5], 0
.LBB9_611:
	s_andn2_b64 vcc, exec, s[4:5]
	s_cbranch_vccnz .LBB9_627
; %bb.612:
	v_mov_b32_e32 v5, 2
	v_cmp_lt_i16_sdwa s[8:9], v30, v5 src0_sel:BYTE_0 src1_sel:DWORD
	s_mov_b64 s[4:5], -1
	s_and_b64 vcc, exec, s[8:9]
	s_cbranch_vccnz .LBB9_622
; %bb.613:
	v_mov_b32_e32 v5, 3
	v_cmp_lt_i16_sdwa s[8:9], v30, v5 src0_sel:BYTE_0 src1_sel:DWORD
	s_and_b64 vcc, exec, s[8:9]
	s_cbranch_vccnz .LBB9_619
; %bb.614:
	v_cmp_gt_i16_sdwa s[8:9], v30, v5 src0_sel:BYTE_0 src1_sel:DWORD
	s_and_b64 vcc, exec, s[8:9]
	s_cbranch_vccz .LBB9_616
; %bb.615:
	v_trunc_f64_e32 v[6:7], v[26:27]
	s_movk_i32 s4, 0xffe0
	v_ldexp_f64 v[8:9], v[6:7], s4
	v_floor_f64_e32 v[8:9], v[8:9]
	v_fmac_f64_e32 v[6:7], 0xc1f00000, v[8:9]
	v_cvt_i32_f64_e32 v11, v[8:9]
	v_cvt_u32_f64_e32 v10, v[6:7]
	global_store_dwordx2 v[2:3], v[10:11], off
	s_mov_b64 s[4:5], 0
.LBB9_616:
	s_andn2_b64 vcc, exec, s[4:5]
	s_cbranch_vccnz .LBB9_618
; %bb.617:
	v_cvt_i32_f64_e32 v5, v[26:27]
	global_store_dword v[2:3], v5, off
.LBB9_618:
	s_mov_b64 s[4:5], 0
.LBB9_619:
	s_andn2_b64 vcc, exec, s[4:5]
	s_cbranch_vccnz .LBB9_621
; %bb.620:
	v_cvt_i32_f64_e32 v5, v[26:27]
	global_store_short v[2:3], v5, off
.LBB9_621:
	s_mov_b64 s[4:5], 0
.LBB9_622:
	s_andn2_b64 vcc, exec, s[4:5]
	s_cbranch_vccnz .LBB9_627
; %bb.623:
	v_mov_b32_e32 v5, 0
	v_cmp_gt_i16_sdwa s[8:9], v30, v5 src0_sel:BYTE_0 src1_sel:DWORD
	s_mov_b64 s[4:5], -1
	s_and_b64 vcc, exec, s[8:9]
	s_cbranch_vccz .LBB9_625
; %bb.624:
	v_cvt_i32_f64_e32 v5, v[26:27]
	global_store_byte v[2:3], v5, off
	s_mov_b64 s[4:5], 0
.LBB9_625:
	s_andn2_b64 vcc, exec, s[4:5]
	s_cbranch_vccnz .LBB9_627
; %bb.626:
	v_trunc_f64_e32 v[6:7], v[26:27]
	s_movk_i32 s4, 0xffe0
	v_ldexp_f64 v[8:9], v[6:7], s4
	v_floor_f64_e32 v[8:9], v[8:9]
	v_fmac_f64_e32 v[6:7], 0xc1f00000, v[8:9]
	v_cvt_u32_f64_e32 v5, v[6:7]
	global_store_byte v[2:3], v5, off
.LBB9_627:
.LBB9_628:
	s_lshl_b32 s16, s28, 7
	v_add_u32_e32 v4, s16, v4
	v_ashrrev_i32_e32 v3, 31, v4
	v_mov_b32_e32 v5, s37
	v_add_co_u32_e32 v2, vcc, s36, v4
	v_addc_co_u32_e32 v3, vcc, v5, v3, vcc
	v_mov_b32_e32 v5, 11
	v_cmp_lt_i16_sdwa s[4:5], v30, v5 src0_sel:BYTE_0 src1_sel:DWORD
	s_and_b64 vcc, exec, s[4:5]
	s_cbranch_vccnz .LBB9_635
; %bb.629:
	v_mov_b32_e32 v5, 25
	v_cmp_gt_i16_sdwa s[4:5], v30, v5 src0_sel:BYTE_0 src1_sel:DWORD
	s_mov_b64 s[12:13], -1
	s_mov_b64 s[8:9], 0
	s_and_b64 vcc, exec, s[4:5]
	s_mov_b64 s[10:11], 0
	s_mov_b64 s[4:5], 0
	s_cbranch_vccz .LBB9_672
; %bb.630:
	v_mov_b32_e32 v5, 28
	v_cmp_gt_i16_sdwa s[4:5], v30, v5 src0_sel:BYTE_0 src1_sel:DWORD
	s_and_b64 vcc, exec, s[4:5]
	s_cbranch_vccz .LBB9_637
; %bb.631:
	v_mov_b32_e32 v5, 43
	v_cmp_gt_i16_sdwa s[4:5], v30, v5 src0_sel:BYTE_0 src1_sel:DWORD
	s_and_b64 vcc, exec, s[4:5]
	;; [unrolled: 5-line block ×3, first 2 shown]
	s_cbranch_vccz .LBB9_644
; %bb.633:
	v_mov_b32_e32 v5, 46
	v_cmp_eq_u16_sdwa s[10:11], v30, v5 src0_sel:BYTE_0 src1_sel:DWORD
	s_mov_b64 s[4:5], -1
	s_mov_b64 s[12:13], 0
	s_and_b64 vcc, exec, s[10:11]
	s_mov_b64 s[10:11], 0
	s_cbranch_vccz .LBB9_645
; %bb.634:
	v_cvt_f32_f64_e32 v5, v[24:25]
	v_bfe_u32 v6, v5, 16, 1
	s_movk_i32 s4, 0x7fff
	v_add3_u32 v6, v5, v6, s4
	v_lshrrev_b32_e32 v6, 16, v6
	v_mov_b32_e32 v7, 0x7fc0
	v_cmp_o_f32_e32 vcc, v5, v5
	v_cndmask_b32_e32 v5, v7, v6, vcc
	global_store_dword v[2:3], v5, off
	s_mov_b64 s[4:5], 0
	s_mov_b64 s[10:11], -1
	s_branch .LBB9_645
.LBB9_635:
	s_mov_b64 s[10:11], 0
	s_cbranch_execnz .LBB9_716
.LBB9_636:
	s_andn2_b64 vcc, exec, s[10:11]
	s_cbranch_vccz .LBB9_754
	s_branch .LBB9_957
.LBB9_637:
	s_mov_b64 s[4:5], 0
	s_branch .LBB9_655
.LBB9_638:
	s_or_saveexec_b64 s[12:13], s[12:13]
                                        ; implicit-def: $sgpr14
	s_xor_b64 exec, exec, s[12:13]
	s_cbranch_execz .LBB9_540
.LBB9_639:
	s_mov_b32 s14, 0x46000000
	v_add_f32_e64 v6, |v5|, s14
	v_and_b32_e32 v6, 0xff, v6
	v_cmp_ne_u32_e32 vcc, 0, v6
	s_andn2_b64 s[10:11], s[10:11], exec
	s_and_b64 s[16:17], vcc, exec
	s_mov_b32 s14, 0
	s_or_b64 s[10:11], s[10:11], s[16:17]
	s_or_b64 exec, exec, s[12:13]
	v_mov_b32_e32 v7, s14
	s_and_saveexec_b64 s[12:13], s[10:11]
	s_cbranch_execnz .LBB9_541
	s_branch .LBB9_542
.LBB9_640:
	s_mov_b64 s[4:5], 0
	s_branch .LBB9_651
.LBB9_641:
	s_or_b64 s[6:7], s[42:43], exec
	s_trap 2
	s_cbranch_execz .LBB9_588
	s_branch .LBB9_589
.LBB9_642:
	s_or_saveexec_b64 s[10:11], s[10:11]
                                        ; implicit-def: $sgpr12
	s_xor_b64 exec, exec, s[10:11]
	s_cbranch_execz .LBB9_553
.LBB9_643:
	s_mov_b32 s12, 0x42800000
	v_add_f32_e64 v6, |v5|, s12
	v_and_b32_e32 v6, 0xff, v6
	v_cmp_ne_u32_e32 vcc, 0, v6
	s_andn2_b64 s[8:9], s[8:9], exec
	s_and_b64 s[14:15], vcc, exec
	s_mov_b32 s12, 0
	s_or_b64 s[8:9], s[8:9], s[14:15]
	s_or_b64 exec, exec, s[10:11]
	v_mov_b32_e32 v7, s12
	s_and_saveexec_b64 s[10:11], s[8:9]
	s_cbranch_execnz .LBB9_554
	s_branch .LBB9_555
.LBB9_644:
	s_mov_b64 s[4:5], 0
.LBB9_645:
	s_and_b64 vcc, exec, s[12:13]
	s_cbranch_vccz .LBB9_650
; %bb.646:
	v_mov_b32_e32 v5, 44
	v_cmp_eq_u16_sdwa s[12:13], v30, v5 src0_sel:BYTE_0 src1_sel:DWORD
	s_mov_b64 s[4:5], -1
	s_and_b64 vcc, exec, s[12:13]
	s_cbranch_vccz .LBB9_650
; %bb.647:
	v_cvt_f32_f64_e32 v5, v[24:25]
	v_bfe_u32 v6, v5, 23, 8
	s_movk_i32 s4, 0xff
	v_cmp_ne_u32_e32 vcc, s4, v6
	v_mov_b32_e32 v7, 0xff
	s_and_saveexec_b64 s[10:11], vcc
; %bb.648:
	s_mov_b32 s4, 0x3fffff
	v_lshrrev_b32_e32 v7, 23, v5
	v_and_b32_e32 v8, 0x400000, v5
	v_and_or_b32 v5, v5, s4, v6
	v_cmp_ne_u32_e32 vcc, 0, v8
	v_cmp_ne_u32_e64 s[4:5], 0, v5
	s_and_b64 s[4:5], vcc, s[4:5]
	v_cndmask_b32_e64 v5, 0, 1, s[4:5]
	v_add_u32_e32 v7, v7, v5
; %bb.649:
	s_or_b64 exec, exec, s[10:11]
	s_mov_b64 s[4:5], 0
	s_mov_b64 s[10:11], -1
	global_store_byte v[2:3], v7, off
.LBB9_650:
	s_mov_b64 s[12:13], 0
.LBB9_651:
	s_and_b64 vcc, exec, s[12:13]
	s_cbranch_vccz .LBB9_654
; %bb.652:
	v_mov_b32_e32 v5, 29
	v_cmp_eq_u16_sdwa s[12:13], v30, v5 src0_sel:BYTE_0 src1_sel:DWORD
	s_mov_b64 s[4:5], -1
	s_and_b64 vcc, exec, s[12:13]
	s_cbranch_vccz .LBB9_654
; %bb.653:
	v_trunc_f64_e32 v[6:7], v[24:25]
	s_movk_i32 s4, 0xffe0
	v_ldexp_f64 v[8:9], v[6:7], s4
	v_floor_f64_e32 v[8:9], v[8:9]
	v_fmac_f64_e32 v[6:7], 0xc1f00000, v[8:9]
	v_cvt_u32_f64_e32 v11, v[8:9]
	v_cvt_u32_f64_e32 v10, v[6:7]
	global_store_dwordx2 v[2:3], v[10:11], off
	s_mov_b64 s[4:5], 0
	s_mov_b64 s[10:11], -1
.LBB9_654:
	s_mov_b64 s[12:13], 0
.LBB9_655:
	s_and_b64 vcc, exec, s[12:13]
	s_cbranch_vccz .LBB9_671
; %bb.656:
	v_mov_b32_e32 v5, 27
	v_cmp_lt_i16_sdwa s[12:13], v30, v5 src0_sel:BYTE_0 src1_sel:DWORD
	s_mov_b64 s[10:11], -1
	s_and_b64 vcc, exec, s[12:13]
	s_cbranch_vccnz .LBB9_662
; %bb.657:
	v_cmp_gt_i16_sdwa s[12:13], v30, v5 src0_sel:BYTE_0 src1_sel:DWORD
	s_and_b64 vcc, exec, s[12:13]
	v_cvt_u32_f64_e32 v5, v[24:25]
	s_cbranch_vccz .LBB9_659
; %bb.658:
	s_mov_b64 s[10:11], 0
	global_store_dword v[2:3], v5, off
.LBB9_659:
	s_andn2_b64 vcc, exec, s[10:11]
	s_cbranch_vccnz .LBB9_661
; %bb.660:
	global_store_short v[2:3], v5, off
.LBB9_661:
	s_mov_b64 s[10:11], 0
.LBB9_662:
	s_andn2_b64 vcc, exec, s[10:11]
	s_cbranch_vccnz .LBB9_670
; %bb.663:
	v_cvt_f32_f64_e32 v5, v[24:25]
	v_and_b32_e32 v6, 0x7fffffff, v5
	s_mov_b32 s10, 0x43800000
	v_cmp_gt_u32_e32 vcc, s10, v6
	v_mov_b32_e32 v7, 0x80
	s_and_saveexec_b64 s[10:11], vcc
	s_cbranch_execz .LBB9_669
; %bb.664:
	s_mov_b32 s12, 0x3bffffff
	v_cmp_lt_u32_e32 vcc, s12, v6
	s_mov_b64 s[12:13], 0
                                        ; implicit-def: $vgpr6
	s_and_saveexec_b64 s[14:15], vcc
	s_xor_b64 s[14:15], exec, s[14:15]
	s_cbranch_execz .LBB9_841
; %bb.665:
	v_bfe_u32 v6, v5, 20, 1
	s_mov_b32 s17, 0x487ffff
	v_add3_u32 v6, v5, v6, s17
	s_mov_b64 s[12:13], exec
	v_lshrrev_b32_e32 v6, 20, v6
	s_or_saveexec_b64 s[14:15], s[14:15]
                                        ; implicit-def: $sgpr17
	s_xor_b64 exec, exec, s[14:15]
	s_cbranch_execnz .LBB9_842
.LBB9_666:
	s_or_b64 exec, exec, s[14:15]
	v_mov_b32_e32 v7, s17
	s_and_saveexec_b64 s[14:15], s[12:13]
.LBB9_667:
	v_lshrrev_b32_e32 v5, 24, v5
	s_movk_i32 s12, 0x80
	v_and_or_b32 v7, v5, s12, v6
.LBB9_668:
	s_or_b64 exec, exec, s[14:15]
.LBB9_669:
	s_or_b64 exec, exec, s[10:11]
	global_store_byte v[2:3], v7, off
.LBB9_670:
	s_mov_b64 s[10:11], -1
.LBB9_671:
	s_mov_b64 s[12:13], 0
.LBB9_672:
	s_and_b64 vcc, exec, s[12:13]
	s_cbranch_vccz .LBB9_712
; %bb.673:
	v_mov_b32_e32 v5, 22
	v_cmp_gt_i16_sdwa s[12:13], v30, v5 src0_sel:BYTE_0 src1_sel:DWORD
	s_mov_b64 s[8:9], -1
	s_and_b64 vcc, exec, s[12:13]
	s_cbranch_vccz .LBB9_705
; %bb.674:
	v_mov_b32_e32 v5, 24
	v_cmp_lt_i16_sdwa s[10:11], v30, v5 src0_sel:BYTE_0 src1_sel:DWORD
	s_and_b64 vcc, exec, s[10:11]
	s_cbranch_vccnz .LBB9_694
; %bb.675:
	v_cmp_gt_i16_sdwa s[10:11], v30, v5 src0_sel:BYTE_0 src1_sel:DWORD
	s_and_b64 vcc, exec, s[10:11]
	s_cbranch_vccz .LBB9_683
; %bb.676:
	v_cvt_f32_f64_e32 v5, v[24:25]
	v_and_b32_e32 v6, 0x7fffffff, v5
	s_mov_b32 s8, 0x47800000
	v_cmp_gt_u32_e32 vcc, s8, v6
	v_mov_b32_e32 v7, 0x80
	s_and_saveexec_b64 s[8:9], vcc
	s_cbranch_execz .LBB9_682
; %bb.677:
	s_mov_b32 s10, 0x37ffffff
	v_cmp_lt_u32_e32 vcc, s10, v6
	s_mov_b64 s[10:11], 0
                                        ; implicit-def: $vgpr6
	s_and_saveexec_b64 s[12:13], vcc
	s_xor_b64 s[12:13], exec, s[12:13]
	s_cbranch_execz .LBB9_845
; %bb.678:
	v_bfe_u32 v6, v5, 21, 1
	s_mov_b32 s14, 0x88fffff
	v_add3_u32 v6, v5, v6, s14
	s_mov_b64 s[10:11], exec
	v_lshrrev_b32_e32 v6, 21, v6
	s_or_saveexec_b64 s[12:13], s[12:13]
                                        ; implicit-def: $sgpr14
	s_xor_b64 exec, exec, s[12:13]
	s_cbranch_execnz .LBB9_846
.LBB9_679:
	s_or_b64 exec, exec, s[12:13]
	v_mov_b32_e32 v7, s14
	s_and_saveexec_b64 s[12:13], s[10:11]
.LBB9_680:
	v_lshrrev_b32_e32 v5, 24, v5
	s_movk_i32 s10, 0x80
	v_and_or_b32 v7, v5, s10, v6
.LBB9_681:
	s_or_b64 exec, exec, s[12:13]
.LBB9_682:
	s_or_b64 exec, exec, s[8:9]
	s_mov_b64 s[8:9], 0
	global_store_byte v[2:3], v7, off
.LBB9_683:
	s_and_b64 vcc, exec, s[8:9]
	s_cbranch_vccz .LBB9_693
; %bb.684:
	v_cvt_f32_f64_e32 v5, v[24:25]
	v_and_b32_e32 v7, 0x7fffffff, v5
	s_mov_b32 s8, 0x43f00000
	v_cmp_gt_u32_e32 vcc, s8, v7
                                        ; implicit-def: $vgpr6
	s_and_saveexec_b64 s[8:9], vcc
	s_xor_b64 s[8:9], exec, s[8:9]
	s_cbranch_execz .LBB9_690
; %bb.685:
	s_mov_b32 s10, 0x3c7fffff
	v_cmp_lt_u32_e32 vcc, s10, v7
                                        ; implicit-def: $vgpr6
	s_and_saveexec_b64 s[10:11], vcc
	s_xor_b64 s[10:11], exec, s[10:11]
; %bb.686:
	v_bfe_u32 v6, v5, 20, 1
	s_mov_b32 s12, 0x407ffff
	v_add3_u32 v6, v5, v6, s12
	v_lshrrev_b32_e32 v7, 20, v6
	v_and_b32_e32 v6, 0xff00000, v6
	s_mov_b32 s12, 0x7f00000
	v_mov_b32_e32 v8, 0x7e
	v_cmp_ne_u32_e32 vcc, s12, v6
	v_cndmask_b32_e32 v6, v8, v7, vcc
; %bb.687:
	s_andn2_saveexec_b64 s[10:11], s[10:11]
; %bb.688:
	s_mov_b32 s12, 0x46800000
	v_add_f32_e64 v6, |v5|, s12
; %bb.689:
	s_or_b64 exec, exec, s[10:11]
                                        ; implicit-def: $vgpr7
.LBB9_690:
	s_andn2_saveexec_b64 s[8:9], s[8:9]
; %bb.691:
	s_mov_b32 s10, 0x7f800000
	v_mov_b32_e32 v6, 0x7e
	v_mov_b32_e32 v8, 0x7f
	v_cmp_lt_u32_e32 vcc, s10, v7
	v_cndmask_b32_e32 v6, v6, v8, vcc
; %bb.692:
	s_or_b64 exec, exec, s[8:9]
	v_lshrrev_b32_e32 v5, 24, v5
	s_movk_i32 s8, 0x80
	v_and_or_b32 v5, v5, s8, v6
	global_store_byte v[2:3], v5, off
.LBB9_693:
	s_mov_b64 s[8:9], 0
.LBB9_694:
	s_andn2_b64 vcc, exec, s[8:9]
	s_cbranch_vccnz .LBB9_704
; %bb.695:
	v_cvt_f32_f64_e32 v5, v[24:25]
	v_and_b32_e32 v7, 0x7fffffff, v5
	s_mov_b32 s8, 0x47800000
	v_cmp_gt_u32_e32 vcc, s8, v7
                                        ; implicit-def: $vgpr6
	s_and_saveexec_b64 s[8:9], vcc
	s_xor_b64 s[8:9], exec, s[8:9]
	s_cbranch_execz .LBB9_701
; %bb.696:
	s_mov_b32 s10, 0x387fffff
	v_cmp_lt_u32_e32 vcc, s10, v7
                                        ; implicit-def: $vgpr6
	s_and_saveexec_b64 s[10:11], vcc
	s_xor_b64 s[10:11], exec, s[10:11]
; %bb.697:
	v_bfe_u32 v6, v5, 21, 1
	s_mov_b32 s12, 0x80fffff
	v_add3_u32 v6, v5, v6, s12
	v_lshrrev_b32_e32 v6, 21, v6
; %bb.698:
	s_andn2_saveexec_b64 s[10:11], s[10:11]
; %bb.699:
	s_mov_b32 s12, 0x43000000
	v_add_f32_e64 v6, |v5|, s12
; %bb.700:
	s_or_b64 exec, exec, s[10:11]
                                        ; implicit-def: $vgpr7
.LBB9_701:
	s_andn2_saveexec_b64 s[8:9], s[8:9]
; %bb.702:
	s_mov_b32 s10, 0x7f800000
	v_mov_b32_e32 v6, 0x7c
	v_mov_b32_e32 v8, 0x7f
	v_cmp_lt_u32_e32 vcc, s10, v7
	v_cndmask_b32_e32 v6, v6, v8, vcc
; %bb.703:
	s_or_b64 exec, exec, s[8:9]
	v_lshrrev_b32_e32 v5, 24, v5
	s_movk_i32 s8, 0x80
	v_and_or_b32 v5, v5, s8, v6
	global_store_byte v[2:3], v5, off
.LBB9_704:
	s_mov_b64 s[8:9], 0
	s_mov_b64 s[10:11], -1
.LBB9_705:
	s_andn2_b64 vcc, exec, s[8:9]
	s_mov_b64 s[8:9], 0
	s_cbranch_vccnz .LBB9_712
; %bb.706:
	v_mov_b32_e32 v5, 14
	v_cmp_gt_i16_sdwa s[8:9], v30, v5 src0_sel:BYTE_0 src1_sel:DWORD
	s_mov_b64 s[12:13], -1
	s_and_b64 vcc, exec, s[8:9]
	s_cbranch_vccz .LBB9_710
; %bb.707:
	v_mov_b32_e32 v5, 15
	v_cmp_eq_u16_sdwa s[8:9], v30, v5 src0_sel:BYTE_0 src1_sel:DWORD
	s_mov_b64 s[4:5], -1
	s_and_b64 vcc, exec, s[8:9]
	s_cbranch_vccz .LBB9_709
; %bb.708:
	v_cvt_f32_f64_e32 v5, v[24:25]
	v_bfe_u32 v6, v5, 16, 1
	s_movk_i32 s4, 0x7fff
	v_add3_u32 v6, v5, v6, s4
	v_lshrrev_b32_e32 v6, 16, v6
	v_mov_b32_e32 v7, 0x7fc0
	v_cmp_o_f32_e32 vcc, v5, v5
	v_cndmask_b32_e32 v5, v7, v6, vcc
	global_store_short v[2:3], v5, off
	s_mov_b64 s[4:5], 0
	s_mov_b64 s[10:11], -1
.LBB9_709:
	s_mov_b64 s[12:13], 0
.LBB9_710:
	s_mov_b64 s[8:9], 0
	s_and_b64 vcc, exec, s[12:13]
	s_cbranch_vccz .LBB9_712
; %bb.711:
	v_mov_b32_e32 v5, 11
	v_cmp_ne_u16_sdwa s[4:5], v30, v5 src0_sel:BYTE_0 src1_sel:DWORD
	s_mov_b64 s[8:9], -1
.LBB9_712:
	s_and_b64 vcc, exec, s[4:5]
	s_cbranch_vccnz .LBB9_844
; %bb.713:
	s_andn2_b64 vcc, exec, s[8:9]
	s_cbranch_vccnz .LBB9_715
.LBB9_714:
	v_cmp_neq_f64_e32 vcc, 0, v[24:25]
	v_cndmask_b32_e64 v5, 0, 1, vcc
	s_mov_b64 s[10:11], -1
	global_store_byte v[2:3], v5, off
.LBB9_715:
	s_branch .LBB9_636
.LBB9_716:
	v_mov_b32_e32 v5, 5
	v_cmp_lt_i16_sdwa s[8:9], v30, v5 src0_sel:BYTE_0 src1_sel:DWORD
	s_mov_b64 s[4:5], -1
	s_and_b64 vcc, exec, s[8:9]
	s_cbranch_vccnz .LBB9_737
; %bb.717:
	v_mov_b32_e32 v5, 8
	v_cmp_lt_i16_sdwa s[8:9], v30, v5 src0_sel:BYTE_0 src1_sel:DWORD
	s_and_b64 vcc, exec, s[8:9]
	s_cbranch_vccnz .LBB9_727
; %bb.718:
	v_mov_b32_e32 v5, 9
	v_cmp_lt_i16_sdwa s[8:9], v30, v5 src0_sel:BYTE_0 src1_sel:DWORD
	s_and_b64 vcc, exec, s[8:9]
	s_cbranch_vccnz .LBB9_724
; %bb.719:
	v_cmp_gt_i16_sdwa s[8:9], v30, v5 src0_sel:BYTE_0 src1_sel:DWORD
	s_and_b64 vcc, exec, s[8:9]
	s_cbranch_vccz .LBB9_721
; %bb.720:
	v_mov_b32_e32 v26, 0
	v_mov_b32_e32 v27, v26
	global_store_dwordx4 v[2:3], v[24:27], off
	s_mov_b64 s[4:5], 0
.LBB9_721:
	s_andn2_b64 vcc, exec, s[4:5]
	s_cbranch_vccnz .LBB9_723
; %bb.722:
	v_cvt_f32_f64_e32 v6, v[24:25]
	v_mov_b32_e32 v7, 0
	global_store_dwordx2 v[2:3], v[6:7], off
.LBB9_723:
	s_mov_b64 s[4:5], 0
.LBB9_724:
	s_andn2_b64 vcc, exec, s[4:5]
	s_cbranch_vccnz .LBB9_726
; %bb.725:
	v_cvt_f32_f64_e32 v5, v[24:25]
	v_cvt_f16_f32_e32 v5, v5
	global_store_dword v[2:3], v5, off
.LBB9_726:
	s_mov_b64 s[4:5], 0
.LBB9_727:
	s_andn2_b64 vcc, exec, s[4:5]
	s_cbranch_vccnz .LBB9_736
; %bb.728:
	v_mov_b32_e32 v5, 6
	v_cmp_lt_i16_sdwa s[8:9], v30, v5 src0_sel:BYTE_0 src1_sel:DWORD
	s_mov_b64 s[4:5], -1
	s_and_b64 vcc, exec, s[8:9]
	s_cbranch_vccnz .LBB9_734
; %bb.729:
	v_cmp_gt_i16_sdwa s[8:9], v30, v5 src0_sel:BYTE_0 src1_sel:DWORD
	s_and_b64 vcc, exec, s[8:9]
	s_cbranch_vccz .LBB9_731
; %bb.730:
	global_store_dwordx2 v[2:3], v[24:25], off
	s_mov_b64 s[4:5], 0
.LBB9_731:
	s_andn2_b64 vcc, exec, s[4:5]
	s_cbranch_vccnz .LBB9_733
; %bb.732:
	v_cvt_f32_f64_e32 v5, v[24:25]
	global_store_dword v[2:3], v5, off
.LBB9_733:
	s_mov_b64 s[4:5], 0
.LBB9_734:
	s_andn2_b64 vcc, exec, s[4:5]
	s_cbranch_vccnz .LBB9_736
; %bb.735:
	v_cvt_f32_f64_e32 v5, v[24:25]
	v_cvt_f16_f32_e32 v5, v5
	global_store_short v[2:3], v5, off
.LBB9_736:
	s_mov_b64 s[4:5], 0
.LBB9_737:
	s_andn2_b64 vcc, exec, s[4:5]
	s_cbranch_vccnz .LBB9_753
; %bb.738:
	v_mov_b32_e32 v5, 2
	v_cmp_lt_i16_sdwa s[8:9], v30, v5 src0_sel:BYTE_0 src1_sel:DWORD
	s_mov_b64 s[4:5], -1
	s_and_b64 vcc, exec, s[8:9]
	s_cbranch_vccnz .LBB9_748
; %bb.739:
	v_mov_b32_e32 v5, 3
	v_cmp_lt_i16_sdwa s[8:9], v30, v5 src0_sel:BYTE_0 src1_sel:DWORD
	s_and_b64 vcc, exec, s[8:9]
	s_cbranch_vccnz .LBB9_745
; %bb.740:
	v_cmp_gt_i16_sdwa s[8:9], v30, v5 src0_sel:BYTE_0 src1_sel:DWORD
	s_and_b64 vcc, exec, s[8:9]
	s_cbranch_vccz .LBB9_742
; %bb.741:
	v_trunc_f64_e32 v[6:7], v[24:25]
	s_movk_i32 s4, 0xffe0
	v_ldexp_f64 v[8:9], v[6:7], s4
	v_floor_f64_e32 v[8:9], v[8:9]
	v_fmac_f64_e32 v[6:7], 0xc1f00000, v[8:9]
	v_cvt_i32_f64_e32 v11, v[8:9]
	v_cvt_u32_f64_e32 v10, v[6:7]
	global_store_dwordx2 v[2:3], v[10:11], off
	s_mov_b64 s[4:5], 0
.LBB9_742:
	s_andn2_b64 vcc, exec, s[4:5]
	s_cbranch_vccnz .LBB9_744
; %bb.743:
	v_cvt_i32_f64_e32 v5, v[24:25]
	global_store_dword v[2:3], v5, off
.LBB9_744:
	s_mov_b64 s[4:5], 0
.LBB9_745:
	s_andn2_b64 vcc, exec, s[4:5]
	s_cbranch_vccnz .LBB9_747
; %bb.746:
	v_cvt_i32_f64_e32 v5, v[24:25]
	global_store_short v[2:3], v5, off
.LBB9_747:
	s_mov_b64 s[4:5], 0
.LBB9_748:
	s_andn2_b64 vcc, exec, s[4:5]
	s_cbranch_vccnz .LBB9_753
; %bb.749:
	v_mov_b32_e32 v5, 0
	v_cmp_gt_i16_sdwa s[8:9], v30, v5 src0_sel:BYTE_0 src1_sel:DWORD
	s_mov_b64 s[4:5], -1
	s_and_b64 vcc, exec, s[8:9]
	s_cbranch_vccz .LBB9_751
; %bb.750:
	v_cvt_i32_f64_e32 v5, v[24:25]
	global_store_byte v[2:3], v5, off
	s_mov_b64 s[4:5], 0
.LBB9_751:
	s_andn2_b64 vcc, exec, s[4:5]
	s_cbranch_vccnz .LBB9_753
; %bb.752:
	v_trunc_f64_e32 v[6:7], v[24:25]
	s_movk_i32 s4, 0xffe0
	v_ldexp_f64 v[8:9], v[6:7], s4
	v_floor_f64_e32 v[8:9], v[8:9]
	v_fmac_f64_e32 v[6:7], 0xc1f00000, v[8:9]
	v_cvt_u32_f64_e32 v5, v[6:7]
	global_store_byte v[2:3], v5, off
.LBB9_753:
.LBB9_754:
	v_add_u32_e32 v4, s16, v4
	v_ashrrev_i32_e32 v3, 31, v4
	v_mov_b32_e32 v5, s37
	v_add_co_u32_e32 v2, vcc, s36, v4
	v_addc_co_u32_e32 v3, vcc, v5, v3, vcc
	v_mov_b32_e32 v5, 11
	v_cmp_lt_i16_sdwa s[4:5], v30, v5 src0_sel:BYTE_0 src1_sel:DWORD
	s_and_b64 vcc, exec, s[4:5]
	s_cbranch_vccnz .LBB9_761
; %bb.755:
	v_mov_b32_e32 v5, 25
	v_cmp_gt_i16_sdwa s[4:5], v30, v5 src0_sel:BYTE_0 src1_sel:DWORD
	s_mov_b64 s[12:13], -1
	s_mov_b64 s[8:9], 0
	s_and_b64 vcc, exec, s[4:5]
	s_mov_b64 s[10:11], 0
	s_mov_b64 s[4:5], 0
	s_cbranch_vccz .LBB9_875
; %bb.756:
	v_mov_b32_e32 v5, 28
	v_cmp_gt_i16_sdwa s[4:5], v30, v5 src0_sel:BYTE_0 src1_sel:DWORD
	s_and_b64 vcc, exec, s[4:5]
	s_cbranch_vccz .LBB9_840
; %bb.757:
	v_mov_b32_e32 v5, 43
	v_cmp_gt_i16_sdwa s[4:5], v30, v5 src0_sel:BYTE_0 src1_sel:DWORD
	s_and_b64 vcc, exec, s[4:5]
	;; [unrolled: 5-line block ×3, first 2 shown]
	s_cbranch_vccz .LBB9_847
; %bb.759:
	v_mov_b32_e32 v5, 46
	v_cmp_eq_u16_sdwa s[10:11], v30, v5 src0_sel:BYTE_0 src1_sel:DWORD
	s_mov_b64 s[4:5], -1
	s_mov_b64 s[12:13], 0
	s_and_b64 vcc, exec, s[10:11]
	s_mov_b64 s[10:11], 0
	s_cbranch_vccz .LBB9_848
; %bb.760:
	v_cvt_f32_f64_e32 v5, v[22:23]
	v_bfe_u32 v6, v5, 16, 1
	s_movk_i32 s4, 0x7fff
	v_add3_u32 v6, v5, v6, s4
	v_lshrrev_b32_e32 v6, 16, v6
	v_mov_b32_e32 v7, 0x7fc0
	v_cmp_o_f32_e32 vcc, v5, v5
	v_cndmask_b32_e32 v5, v7, v6, vcc
	global_store_dword v[2:3], v5, off
	s_mov_b64 s[4:5], 0
	s_mov_b64 s[10:11], -1
	s_branch .LBB9_848
.LBB9_761:
	s_mov_b64 s[10:11], 0
	s_cbranch_execnz .LBB9_919
.LBB9_762:
	s_andn2_b64 vcc, exec, s[10:11]
	s_cbranch_vccnz .LBB9_957
.LBB9_763:
	v_add_u32_e32 v2, s16, v4
	v_ashrrev_i32_e32 v3, 31, v2
	v_mov_b32_e32 v5, s37
	v_add_co_u32_e32 v4, vcc, s36, v2
	v_addc_co_u32_e32 v5, vcc, v5, v3, vcc
	v_and_b32_e32 v6, 0xff, v30
	v_cmp_gt_i16_e32 vcc, 11, v6
	s_cbranch_vccnz .LBB9_839
; %bb.764:
	v_cmp_lt_i16_e32 vcc, 25, v6
	s_mov_b64 s[10:11], -1
	s_mov_b64 s[8:9], 0
	s_mov_b64 s[4:5], 0
	s_cbranch_vccz .LBB9_797
; %bb.765:
	v_cmp_lt_i16_e32 vcc, 28, v6
	s_cbranch_vccz .LBB9_781
; %bb.766:
	v_cmp_lt_i16_e32 vcc, 43, v6
	;; [unrolled: 3-line block ×3, first 2 shown]
	s_cbranch_vccz .LBB9_771
; %bb.768:
	v_cmp_eq_u16_e32 vcc, 46, v6
	s_mov_b64 s[4:5], -1
	s_cbranch_vccz .LBB9_770
; %bb.769:
	v_cvt_f32_f64_e32 v2, v[0:1]
	v_bfe_u32 v3, v2, 16, 1
	s_movk_i32 s4, 0x7fff
	v_add3_u32 v3, v2, v3, s4
	v_lshrrev_b32_e32 v3, 16, v3
	v_mov_b32_e32 v7, 0x7fc0
	v_cmp_o_f32_e32 vcc, v2, v2
	v_cndmask_b32_e32 v2, v7, v3, vcc
	global_store_dword v[4:5], v2, off
	s_mov_b64 s[4:5], 0
.LBB9_770:
	s_mov_b64 s[10:11], 0
.LBB9_771:
	s_and_b64 vcc, exec, s[10:11]
	s_cbranch_vccz .LBB9_776
; %bb.772:
	v_cmp_eq_u16_e32 vcc, 44, v6
	s_mov_b64 s[4:5], -1
	s_cbranch_vccz .LBB9_776
; %bb.773:
	v_cvt_f32_f64_e32 v2, v[0:1]
	v_bfe_u32 v3, v2, 23, 8
	s_movk_i32 s4, 0xff
	v_cmp_ne_u32_e32 vcc, s4, v3
	v_mov_b32_e32 v7, 0xff
	s_and_saveexec_b64 s[10:11], vcc
; %bb.774:
	s_mov_b32 s4, 0x3fffff
	v_lshrrev_b32_e32 v7, 23, v2
	v_and_b32_e32 v8, 0x400000, v2
	v_and_or_b32 v2, v2, s4, v3
	v_cmp_ne_u32_e32 vcc, 0, v8
	v_cmp_ne_u32_e64 s[4:5], 0, v2
	s_and_b64 s[4:5], vcc, s[4:5]
	v_cndmask_b32_e64 v2, 0, 1, s[4:5]
	v_add_u32_e32 v7, v7, v2
; %bb.775:
	s_or_b64 exec, exec, s[10:11]
	s_mov_b64 s[4:5], 0
	global_store_byte v[4:5], v7, off
.LBB9_776:
	s_mov_b64 s[10:11], 0
.LBB9_777:
	s_and_b64 vcc, exec, s[10:11]
	s_cbranch_vccz .LBB9_780
; %bb.778:
	v_cmp_eq_u16_e32 vcc, 29, v6
	s_mov_b64 s[4:5], -1
	s_cbranch_vccz .LBB9_780
; %bb.779:
	v_trunc_f64_e32 v[2:3], v[0:1]
	s_movk_i32 s4, 0xffe0
	v_ldexp_f64 v[8:9], v[2:3], s4
	v_floor_f64_e32 v[8:9], v[8:9]
	v_fmac_f64_e32 v[2:3], 0xc1f00000, v[8:9]
	v_cvt_u32_f64_e32 v11, v[8:9]
	v_cvt_u32_f64_e32 v10, v[2:3]
	global_store_dwordx2 v[4:5], v[10:11], off
	s_mov_b64 s[4:5], 0
.LBB9_780:
	s_mov_b64 s[10:11], 0
.LBB9_781:
	s_and_b64 vcc, exec, s[10:11]
	s_cbranch_vccz .LBB9_796
; %bb.782:
	v_cmp_gt_i16_e32 vcc, 27, v6
	s_mov_b64 s[10:11], -1
	s_cbranch_vccnz .LBB9_788
; %bb.783:
	v_cmp_lt_i16_e32 vcc, 27, v6
	v_cvt_u32_f64_e32 v2, v[0:1]
	s_cbranch_vccz .LBB9_785
; %bb.784:
	global_store_dword v[4:5], v2, off
	s_mov_b64 s[10:11], 0
.LBB9_785:
	s_andn2_b64 vcc, exec, s[10:11]
	s_cbranch_vccnz .LBB9_787
; %bb.786:
	global_store_short v[4:5], v2, off
.LBB9_787:
	s_mov_b64 s[10:11], 0
.LBB9_788:
	s_andn2_b64 vcc, exec, s[10:11]
	s_cbranch_vccnz .LBB9_796
; %bb.789:
	v_cvt_f32_f64_e32 v2, v[0:1]
	v_and_b32_e32 v3, 0x7fffffff, v2
	s_mov_b32 s10, 0x43800000
	v_cmp_gt_u32_e32 vcc, s10, v3
	v_mov_b32_e32 v7, 0x80
	s_and_saveexec_b64 s[10:11], vcc
	s_cbranch_execz .LBB9_795
; %bb.790:
	s_mov_b32 s12, 0x3bffffff
	v_cmp_lt_u32_e32 vcc, s12, v3
	s_mov_b64 s[12:13], 0
                                        ; implicit-def: $vgpr3
	s_and_saveexec_b64 s[14:15], vcc
	s_xor_b64 s[14:15], exec, s[14:15]
	s_cbranch_execz .LBB9_1007
; %bb.791:
	v_bfe_u32 v3, v2, 20, 1
	s_mov_b32 s16, 0x487ffff
	v_add3_u32 v3, v2, v3, s16
	s_mov_b64 s[12:13], exec
	v_lshrrev_b32_e32 v3, 20, v3
	s_or_saveexec_b64 s[14:15], s[14:15]
                                        ; implicit-def: $sgpr16
	s_xor_b64 exec, exec, s[14:15]
	s_cbranch_execnz .LBB9_1008
.LBB9_792:
	s_or_b64 exec, exec, s[14:15]
	v_mov_b32_e32 v7, s16
	s_and_saveexec_b64 s[14:15], s[12:13]
.LBB9_793:
	v_lshrrev_b32_e32 v2, 24, v2
	s_movk_i32 s12, 0x80
	v_and_or_b32 v7, v2, s12, v3
.LBB9_794:
	s_or_b64 exec, exec, s[14:15]
.LBB9_795:
	s_or_b64 exec, exec, s[10:11]
	global_store_byte v[4:5], v7, off
.LBB9_796:
	s_mov_b64 s[10:11], 0
.LBB9_797:
	s_and_b64 vcc, exec, s[10:11]
	s_cbranch_vccz .LBB9_837
; %bb.798:
	v_cmp_lt_i16_e32 vcc, 22, v6
	s_mov_b64 s[8:9], -1
	s_cbranch_vccz .LBB9_830
; %bb.799:
	v_cmp_gt_i16_e32 vcc, 24, v6
	s_cbranch_vccnz .LBB9_819
; %bb.800:
	v_cmp_lt_i16_e32 vcc, 24, v6
	s_cbranch_vccz .LBB9_808
; %bb.801:
	v_cvt_f32_f64_e32 v2, v[0:1]
	v_and_b32_e32 v3, 0x7fffffff, v2
	s_mov_b32 s8, 0x47800000
	v_cmp_gt_u32_e32 vcc, s8, v3
	v_mov_b32_e32 v7, 0x80
	s_and_saveexec_b64 s[8:9], vcc
	s_cbranch_execz .LBB9_807
; %bb.802:
	s_mov_b32 s10, 0x37ffffff
	v_cmp_lt_u32_e32 vcc, s10, v3
	s_mov_b64 s[10:11], 0
                                        ; implicit-def: $vgpr3
	s_and_saveexec_b64 s[12:13], vcc
	s_xor_b64 s[12:13], exec, s[12:13]
	s_cbranch_execz .LBB9_1016
; %bb.803:
	v_bfe_u32 v3, v2, 21, 1
	s_mov_b32 s14, 0x88fffff
	v_add3_u32 v3, v2, v3, s14
	s_mov_b64 s[10:11], exec
	v_lshrrev_b32_e32 v3, 21, v3
	s_or_saveexec_b64 s[12:13], s[12:13]
                                        ; implicit-def: $sgpr14
	s_xor_b64 exec, exec, s[12:13]
	s_cbranch_execnz .LBB9_1017
.LBB9_804:
	s_or_b64 exec, exec, s[12:13]
	v_mov_b32_e32 v7, s14
	s_and_saveexec_b64 s[12:13], s[10:11]
.LBB9_805:
	v_lshrrev_b32_e32 v2, 24, v2
	s_movk_i32 s10, 0x80
	v_and_or_b32 v7, v2, s10, v3
.LBB9_806:
	s_or_b64 exec, exec, s[12:13]
.LBB9_807:
	s_or_b64 exec, exec, s[8:9]
	s_mov_b64 s[8:9], 0
	global_store_byte v[4:5], v7, off
.LBB9_808:
	s_and_b64 vcc, exec, s[8:9]
	s_cbranch_vccz .LBB9_818
; %bb.809:
	v_cvt_f32_f64_e32 v2, v[0:1]
	v_and_b32_e32 v7, 0x7fffffff, v2
	s_mov_b32 s8, 0x43f00000
	v_cmp_gt_u32_e32 vcc, s8, v7
                                        ; implicit-def: $vgpr3
	s_and_saveexec_b64 s[8:9], vcc
	s_xor_b64 s[8:9], exec, s[8:9]
	s_cbranch_execz .LBB9_815
; %bb.810:
	s_mov_b32 s10, 0x3c7fffff
	v_cmp_lt_u32_e32 vcc, s10, v7
                                        ; implicit-def: $vgpr3
	s_and_saveexec_b64 s[10:11], vcc
	s_xor_b64 s[10:11], exec, s[10:11]
; %bb.811:
	v_bfe_u32 v3, v2, 20, 1
	s_mov_b32 s12, 0x407ffff
	v_add3_u32 v3, v2, v3, s12
	v_lshrrev_b32_e32 v7, 20, v3
	v_and_b32_e32 v3, 0xff00000, v3
	s_mov_b32 s12, 0x7f00000
	v_mov_b32_e32 v8, 0x7e
	v_cmp_ne_u32_e32 vcc, s12, v3
	v_cndmask_b32_e32 v3, v8, v7, vcc
; %bb.812:
	s_andn2_saveexec_b64 s[10:11], s[10:11]
; %bb.813:
	s_mov_b32 s12, 0x46800000
	v_add_f32_e64 v3, |v2|, s12
; %bb.814:
	s_or_b64 exec, exec, s[10:11]
                                        ; implicit-def: $vgpr7
.LBB9_815:
	s_andn2_saveexec_b64 s[8:9], s[8:9]
; %bb.816:
	s_mov_b32 s10, 0x7f800000
	v_mov_b32_e32 v3, 0x7e
	v_mov_b32_e32 v8, 0x7f
	v_cmp_lt_u32_e32 vcc, s10, v7
	v_cndmask_b32_e32 v3, v3, v8, vcc
; %bb.817:
	s_or_b64 exec, exec, s[8:9]
	v_lshrrev_b32_e32 v2, 24, v2
	s_movk_i32 s8, 0x80
	v_and_or_b32 v2, v2, s8, v3
	global_store_byte v[4:5], v2, off
.LBB9_818:
	s_mov_b64 s[8:9], 0
.LBB9_819:
	s_andn2_b64 vcc, exec, s[8:9]
	s_cbranch_vccnz .LBB9_829
; %bb.820:
	v_cvt_f32_f64_e32 v2, v[0:1]
	v_and_b32_e32 v7, 0x7fffffff, v2
	s_mov_b32 s8, 0x47800000
	v_cmp_gt_u32_e32 vcc, s8, v7
                                        ; implicit-def: $vgpr3
	s_and_saveexec_b64 s[8:9], vcc
	s_xor_b64 s[8:9], exec, s[8:9]
	s_cbranch_execz .LBB9_826
; %bb.821:
	s_mov_b32 s10, 0x387fffff
	v_cmp_lt_u32_e32 vcc, s10, v7
                                        ; implicit-def: $vgpr3
	s_and_saveexec_b64 s[10:11], vcc
	s_xor_b64 s[10:11], exec, s[10:11]
; %bb.822:
	v_bfe_u32 v3, v2, 21, 1
	s_mov_b32 s12, 0x80fffff
	v_add3_u32 v3, v2, v3, s12
	v_lshrrev_b32_e32 v3, 21, v3
; %bb.823:
	s_andn2_saveexec_b64 s[10:11], s[10:11]
; %bb.824:
	s_mov_b32 s12, 0x43000000
	v_add_f32_e64 v3, |v2|, s12
; %bb.825:
	s_or_b64 exec, exec, s[10:11]
                                        ; implicit-def: $vgpr7
.LBB9_826:
	s_andn2_saveexec_b64 s[8:9], s[8:9]
; %bb.827:
	s_mov_b32 s10, 0x7f800000
	v_mov_b32_e32 v3, 0x7c
	v_mov_b32_e32 v8, 0x7f
	v_cmp_lt_u32_e32 vcc, s10, v7
	v_cndmask_b32_e32 v3, v3, v8, vcc
; %bb.828:
	s_or_b64 exec, exec, s[8:9]
	v_lshrrev_b32_e32 v2, 24, v2
	s_movk_i32 s8, 0x80
	v_and_or_b32 v2, v2, s8, v3
	global_store_byte v[4:5], v2, off
.LBB9_829:
	s_mov_b64 s[8:9], 0
.LBB9_830:
	s_andn2_b64 vcc, exec, s[8:9]
	s_mov_b64 s[8:9], 0
	s_cbranch_vccnz .LBB9_837
; %bb.831:
	v_cmp_lt_i16_e32 vcc, 14, v6
	s_mov_b64 s[10:11], -1
	s_cbranch_vccz .LBB9_835
; %bb.832:
	v_cmp_eq_u16_e32 vcc, 15, v6
	s_mov_b64 s[4:5], -1
	s_cbranch_vccz .LBB9_834
; %bb.833:
	v_cvt_f32_f64_e32 v2, v[0:1]
	v_bfe_u32 v3, v2, 16, 1
	s_movk_i32 s4, 0x7fff
	v_add3_u32 v3, v2, v3, s4
	v_lshrrev_b32_e32 v3, 16, v3
	v_mov_b32_e32 v7, 0x7fc0
	v_cmp_o_f32_e32 vcc, v2, v2
	v_cndmask_b32_e32 v2, v7, v3, vcc
	global_store_short v[4:5], v2, off
	s_mov_b64 s[4:5], 0
.LBB9_834:
	s_mov_b64 s[10:11], 0
.LBB9_835:
	s_and_b64 vcc, exec, s[10:11]
	s_cbranch_vccz .LBB9_837
; %bb.836:
	v_cmp_ne_u16_e64 s[4:5], 11, v6
	s_mov_b64 s[8:9], -1
.LBB9_837:
	s_and_b64 vcc, exec, s[4:5]
	s_cbranch_vccnz .LBB9_1011
.LBB9_838:
	s_mov_b64 s[4:5], 0
	s_branch .LBB9_958
.LBB9_839:
	s_mov_b64 s[8:9], 0
	s_mov_b64 s[4:5], -1
	s_branch .LBB9_958
.LBB9_840:
	s_mov_b64 s[4:5], 0
	s_branch .LBB9_858
.LBB9_841:
	s_or_saveexec_b64 s[14:15], s[14:15]
                                        ; implicit-def: $sgpr17
	s_xor_b64 exec, exec, s[14:15]
	s_cbranch_execz .LBB9_666
.LBB9_842:
	s_mov_b32 s17, 0x46000000
	v_add_f32_e64 v6, |v5|, s17
	v_and_b32_e32 v6, 0xff, v6
	v_cmp_ne_u32_e32 vcc, 0, v6
	s_andn2_b64 s[12:13], s[12:13], exec
	s_and_b64 s[18:19], vcc, exec
	s_mov_b32 s17, 0
	s_or_b64 s[12:13], s[12:13], s[18:19]
	s_or_b64 exec, exec, s[14:15]
	v_mov_b32_e32 v7, s17
	s_and_saveexec_b64 s[14:15], s[12:13]
	s_cbranch_execnz .LBB9_667
	s_branch .LBB9_668
.LBB9_843:
	s_mov_b64 s[4:5], 0
	s_branch .LBB9_854
.LBB9_844:
	s_trap 2
	s_or_b64 s[6:7], s[6:7], exec
	s_cbranch_execz .LBB9_714
	s_branch .LBB9_715
.LBB9_845:
	s_or_saveexec_b64 s[12:13], s[12:13]
                                        ; implicit-def: $sgpr14
	s_xor_b64 exec, exec, s[12:13]
	s_cbranch_execz .LBB9_679
.LBB9_846:
	s_mov_b32 s14, 0x42800000
	v_add_f32_e64 v6, |v5|, s14
	v_and_b32_e32 v6, 0xff, v6
	v_cmp_ne_u32_e32 vcc, 0, v6
	s_andn2_b64 s[10:11], s[10:11], exec
	s_and_b64 s[18:19], vcc, exec
	s_mov_b32 s14, 0
	s_or_b64 s[10:11], s[10:11], s[18:19]
	s_or_b64 exec, exec, s[12:13]
	v_mov_b32_e32 v7, s14
	s_and_saveexec_b64 s[12:13], s[10:11]
	s_cbranch_execnz .LBB9_680
	s_branch .LBB9_681
.LBB9_847:
	s_mov_b64 s[4:5], 0
.LBB9_848:
	s_and_b64 vcc, exec, s[12:13]
	s_cbranch_vccz .LBB9_853
; %bb.849:
	v_mov_b32_e32 v5, 44
	v_cmp_eq_u16_sdwa s[12:13], v30, v5 src0_sel:BYTE_0 src1_sel:DWORD
	s_mov_b64 s[4:5], -1
	s_and_b64 vcc, exec, s[12:13]
	s_cbranch_vccz .LBB9_853
; %bb.850:
	v_cvt_f32_f64_e32 v5, v[22:23]
	v_bfe_u32 v6, v5, 23, 8
	s_movk_i32 s4, 0xff
	v_cmp_ne_u32_e32 vcc, s4, v6
	v_mov_b32_e32 v7, 0xff
	s_and_saveexec_b64 s[10:11], vcc
; %bb.851:
	s_mov_b32 s4, 0x3fffff
	v_lshrrev_b32_e32 v7, 23, v5
	v_and_b32_e32 v8, 0x400000, v5
	v_and_or_b32 v5, v5, s4, v6
	v_cmp_ne_u32_e32 vcc, 0, v8
	v_cmp_ne_u32_e64 s[4:5], 0, v5
	s_and_b64 s[4:5], vcc, s[4:5]
	v_cndmask_b32_e64 v5, 0, 1, s[4:5]
	v_add_u32_e32 v7, v7, v5
; %bb.852:
	s_or_b64 exec, exec, s[10:11]
	s_mov_b64 s[4:5], 0
	s_mov_b64 s[10:11], -1
	global_store_byte v[2:3], v7, off
.LBB9_853:
	s_mov_b64 s[12:13], 0
.LBB9_854:
	s_and_b64 vcc, exec, s[12:13]
	s_cbranch_vccz .LBB9_857
; %bb.855:
	v_mov_b32_e32 v5, 29
	v_cmp_eq_u16_sdwa s[12:13], v30, v5 src0_sel:BYTE_0 src1_sel:DWORD
	s_mov_b64 s[4:5], -1
	s_and_b64 vcc, exec, s[12:13]
	s_cbranch_vccz .LBB9_857
; %bb.856:
	v_trunc_f64_e32 v[6:7], v[22:23]
	s_movk_i32 s4, 0xffe0
	v_ldexp_f64 v[8:9], v[6:7], s4
	v_floor_f64_e32 v[8:9], v[8:9]
	v_fmac_f64_e32 v[6:7], 0xc1f00000, v[8:9]
	v_cvt_u32_f64_e32 v11, v[8:9]
	v_cvt_u32_f64_e32 v10, v[6:7]
	global_store_dwordx2 v[2:3], v[10:11], off
	s_mov_b64 s[4:5], 0
	s_mov_b64 s[10:11], -1
.LBB9_857:
	s_mov_b64 s[12:13], 0
.LBB9_858:
	s_and_b64 vcc, exec, s[12:13]
	s_cbranch_vccz .LBB9_874
; %bb.859:
	v_mov_b32_e32 v5, 27
	v_cmp_lt_i16_sdwa s[12:13], v30, v5 src0_sel:BYTE_0 src1_sel:DWORD
	s_mov_b64 s[10:11], -1
	s_and_b64 vcc, exec, s[12:13]
	s_cbranch_vccnz .LBB9_865
; %bb.860:
	v_cmp_gt_i16_sdwa s[12:13], v30, v5 src0_sel:BYTE_0 src1_sel:DWORD
	s_and_b64 vcc, exec, s[12:13]
	v_cvt_u32_f64_e32 v5, v[22:23]
	s_cbranch_vccz .LBB9_862
; %bb.861:
	s_mov_b64 s[10:11], 0
	global_store_dword v[2:3], v5, off
.LBB9_862:
	s_andn2_b64 vcc, exec, s[10:11]
	s_cbranch_vccnz .LBB9_864
; %bb.863:
	global_store_short v[2:3], v5, off
.LBB9_864:
	s_mov_b64 s[10:11], 0
.LBB9_865:
	s_andn2_b64 vcc, exec, s[10:11]
	s_cbranch_vccnz .LBB9_873
; %bb.866:
	v_cvt_f32_f64_e32 v5, v[22:23]
	v_and_b32_e32 v6, 0x7fffffff, v5
	s_mov_b32 s10, 0x43800000
	v_cmp_gt_u32_e32 vcc, s10, v6
	v_mov_b32_e32 v7, 0x80
	s_and_saveexec_b64 s[10:11], vcc
	s_cbranch_execz .LBB9_872
; %bb.867:
	s_mov_b32 s12, 0x3bffffff
	v_cmp_lt_u32_e32 vcc, s12, v6
	s_mov_b64 s[12:13], 0
                                        ; implicit-def: $vgpr6
	s_and_saveexec_b64 s[14:15], vcc
	s_xor_b64 s[14:15], exec, s[14:15]
	s_cbranch_execz .LBB9_1002
; %bb.868:
	v_bfe_u32 v6, v5, 20, 1
	s_mov_b32 s17, 0x487ffff
	v_add3_u32 v6, v5, v6, s17
	s_mov_b64 s[12:13], exec
	v_lshrrev_b32_e32 v6, 20, v6
	s_or_saveexec_b64 s[14:15], s[14:15]
                                        ; implicit-def: $sgpr17
	s_xor_b64 exec, exec, s[14:15]
	s_cbranch_execnz .LBB9_1003
.LBB9_869:
	s_or_b64 exec, exec, s[14:15]
	v_mov_b32_e32 v7, s17
	s_and_saveexec_b64 s[14:15], s[12:13]
.LBB9_870:
	v_lshrrev_b32_e32 v5, 24, v5
	s_movk_i32 s12, 0x80
	v_and_or_b32 v7, v5, s12, v6
.LBB9_871:
	s_or_b64 exec, exec, s[14:15]
.LBB9_872:
	s_or_b64 exec, exec, s[10:11]
	global_store_byte v[2:3], v7, off
.LBB9_873:
	s_mov_b64 s[10:11], -1
.LBB9_874:
	s_mov_b64 s[12:13], 0
.LBB9_875:
	s_and_b64 vcc, exec, s[12:13]
	s_cbranch_vccz .LBB9_915
; %bb.876:
	v_mov_b32_e32 v5, 22
	v_cmp_gt_i16_sdwa s[12:13], v30, v5 src0_sel:BYTE_0 src1_sel:DWORD
	s_mov_b64 s[8:9], -1
	s_and_b64 vcc, exec, s[12:13]
	s_cbranch_vccz .LBB9_908
; %bb.877:
	v_mov_b32_e32 v5, 24
	v_cmp_lt_i16_sdwa s[10:11], v30, v5 src0_sel:BYTE_0 src1_sel:DWORD
	s_and_b64 vcc, exec, s[10:11]
	s_cbranch_vccnz .LBB9_897
; %bb.878:
	v_cmp_gt_i16_sdwa s[10:11], v30, v5 src0_sel:BYTE_0 src1_sel:DWORD
	s_and_b64 vcc, exec, s[10:11]
	s_cbranch_vccz .LBB9_886
; %bb.879:
	v_cvt_f32_f64_e32 v5, v[22:23]
	v_and_b32_e32 v6, 0x7fffffff, v5
	s_mov_b32 s8, 0x47800000
	v_cmp_gt_u32_e32 vcc, s8, v6
	v_mov_b32_e32 v7, 0x80
	s_and_saveexec_b64 s[8:9], vcc
	s_cbranch_execz .LBB9_885
; %bb.880:
	s_mov_b32 s10, 0x37ffffff
	v_cmp_lt_u32_e32 vcc, s10, v6
	s_mov_b64 s[10:11], 0
                                        ; implicit-def: $vgpr6
	s_and_saveexec_b64 s[12:13], vcc
	s_xor_b64 s[12:13], exec, s[12:13]
	s_cbranch_execz .LBB9_1009
; %bb.881:
	v_bfe_u32 v6, v5, 21, 1
	s_mov_b32 s14, 0x88fffff
	v_add3_u32 v6, v5, v6, s14
	s_mov_b64 s[10:11], exec
	v_lshrrev_b32_e32 v6, 21, v6
	s_or_saveexec_b64 s[12:13], s[12:13]
                                        ; implicit-def: $sgpr14
	s_xor_b64 exec, exec, s[12:13]
	s_cbranch_execnz .LBB9_1010
.LBB9_882:
	s_or_b64 exec, exec, s[12:13]
	v_mov_b32_e32 v7, s14
	s_and_saveexec_b64 s[12:13], s[10:11]
.LBB9_883:
	v_lshrrev_b32_e32 v5, 24, v5
	s_movk_i32 s10, 0x80
	v_and_or_b32 v7, v5, s10, v6
.LBB9_884:
	s_or_b64 exec, exec, s[12:13]
.LBB9_885:
	s_or_b64 exec, exec, s[8:9]
	s_mov_b64 s[8:9], 0
	global_store_byte v[2:3], v7, off
.LBB9_886:
	s_and_b64 vcc, exec, s[8:9]
	s_cbranch_vccz .LBB9_896
; %bb.887:
	v_cvt_f32_f64_e32 v5, v[22:23]
	v_and_b32_e32 v7, 0x7fffffff, v5
	s_mov_b32 s8, 0x43f00000
	v_cmp_gt_u32_e32 vcc, s8, v7
                                        ; implicit-def: $vgpr6
	s_and_saveexec_b64 s[8:9], vcc
	s_xor_b64 s[8:9], exec, s[8:9]
	s_cbranch_execz .LBB9_893
; %bb.888:
	s_mov_b32 s10, 0x3c7fffff
	v_cmp_lt_u32_e32 vcc, s10, v7
                                        ; implicit-def: $vgpr6
	s_and_saveexec_b64 s[10:11], vcc
	s_xor_b64 s[10:11], exec, s[10:11]
; %bb.889:
	v_bfe_u32 v6, v5, 20, 1
	s_mov_b32 s12, 0x407ffff
	v_add3_u32 v6, v5, v6, s12
	v_lshrrev_b32_e32 v7, 20, v6
	v_and_b32_e32 v6, 0xff00000, v6
	s_mov_b32 s12, 0x7f00000
	v_mov_b32_e32 v8, 0x7e
	v_cmp_ne_u32_e32 vcc, s12, v6
	v_cndmask_b32_e32 v6, v8, v7, vcc
; %bb.890:
	s_andn2_saveexec_b64 s[10:11], s[10:11]
; %bb.891:
	s_mov_b32 s12, 0x46800000
	v_add_f32_e64 v6, |v5|, s12
; %bb.892:
	s_or_b64 exec, exec, s[10:11]
                                        ; implicit-def: $vgpr7
.LBB9_893:
	s_andn2_saveexec_b64 s[8:9], s[8:9]
; %bb.894:
	s_mov_b32 s10, 0x7f800000
	v_mov_b32_e32 v6, 0x7e
	v_mov_b32_e32 v8, 0x7f
	v_cmp_lt_u32_e32 vcc, s10, v7
	v_cndmask_b32_e32 v6, v6, v8, vcc
; %bb.895:
	s_or_b64 exec, exec, s[8:9]
	v_lshrrev_b32_e32 v5, 24, v5
	s_movk_i32 s8, 0x80
	v_and_or_b32 v5, v5, s8, v6
	global_store_byte v[2:3], v5, off
.LBB9_896:
	s_mov_b64 s[8:9], 0
.LBB9_897:
	s_andn2_b64 vcc, exec, s[8:9]
	s_cbranch_vccnz .LBB9_907
; %bb.898:
	v_cvt_f32_f64_e32 v5, v[22:23]
	v_and_b32_e32 v7, 0x7fffffff, v5
	s_mov_b32 s8, 0x47800000
	v_cmp_gt_u32_e32 vcc, s8, v7
                                        ; implicit-def: $vgpr6
	s_and_saveexec_b64 s[8:9], vcc
	s_xor_b64 s[8:9], exec, s[8:9]
	s_cbranch_execz .LBB9_904
; %bb.899:
	s_mov_b32 s10, 0x387fffff
	v_cmp_lt_u32_e32 vcc, s10, v7
                                        ; implicit-def: $vgpr6
	s_and_saveexec_b64 s[10:11], vcc
	s_xor_b64 s[10:11], exec, s[10:11]
; %bb.900:
	v_bfe_u32 v6, v5, 21, 1
	s_mov_b32 s12, 0x80fffff
	v_add3_u32 v6, v5, v6, s12
	v_lshrrev_b32_e32 v6, 21, v6
; %bb.901:
	s_andn2_saveexec_b64 s[10:11], s[10:11]
; %bb.902:
	s_mov_b32 s12, 0x43000000
	v_add_f32_e64 v6, |v5|, s12
; %bb.903:
	s_or_b64 exec, exec, s[10:11]
                                        ; implicit-def: $vgpr7
.LBB9_904:
	s_andn2_saveexec_b64 s[8:9], s[8:9]
; %bb.905:
	s_mov_b32 s10, 0x7f800000
	v_mov_b32_e32 v6, 0x7c
	v_mov_b32_e32 v8, 0x7f
	v_cmp_lt_u32_e32 vcc, s10, v7
	v_cndmask_b32_e32 v6, v6, v8, vcc
; %bb.906:
	s_or_b64 exec, exec, s[8:9]
	v_lshrrev_b32_e32 v5, 24, v5
	s_movk_i32 s8, 0x80
	v_and_or_b32 v5, v5, s8, v6
	global_store_byte v[2:3], v5, off
.LBB9_907:
	s_mov_b64 s[8:9], 0
	s_mov_b64 s[10:11], -1
.LBB9_908:
	s_andn2_b64 vcc, exec, s[8:9]
	s_mov_b64 s[8:9], 0
	s_cbranch_vccnz .LBB9_915
; %bb.909:
	v_mov_b32_e32 v5, 14
	v_cmp_gt_i16_sdwa s[8:9], v30, v5 src0_sel:BYTE_0 src1_sel:DWORD
	s_mov_b64 s[12:13], -1
	s_and_b64 vcc, exec, s[8:9]
	s_cbranch_vccz .LBB9_913
; %bb.910:
	v_mov_b32_e32 v5, 15
	v_cmp_eq_u16_sdwa s[8:9], v30, v5 src0_sel:BYTE_0 src1_sel:DWORD
	s_mov_b64 s[4:5], -1
	s_and_b64 vcc, exec, s[8:9]
	s_cbranch_vccz .LBB9_912
; %bb.911:
	v_cvt_f32_f64_e32 v5, v[22:23]
	v_bfe_u32 v6, v5, 16, 1
	s_movk_i32 s4, 0x7fff
	v_add3_u32 v6, v5, v6, s4
	v_lshrrev_b32_e32 v6, 16, v6
	v_mov_b32_e32 v7, 0x7fc0
	v_cmp_o_f32_e32 vcc, v5, v5
	v_cndmask_b32_e32 v5, v7, v6, vcc
	global_store_short v[2:3], v5, off
	s_mov_b64 s[4:5], 0
	s_mov_b64 s[10:11], -1
.LBB9_912:
	s_mov_b64 s[12:13], 0
.LBB9_913:
	s_mov_b64 s[8:9], 0
	s_and_b64 vcc, exec, s[12:13]
	s_cbranch_vccz .LBB9_915
; %bb.914:
	v_mov_b32_e32 v5, 11
	v_cmp_ne_u16_sdwa s[4:5], v30, v5 src0_sel:BYTE_0 src1_sel:DWORD
	s_mov_b64 s[8:9], -1
.LBB9_915:
	s_and_b64 vcc, exec, s[4:5]
	s_cbranch_vccnz .LBB9_1004
; %bb.916:
	s_andn2_b64 vcc, exec, s[8:9]
	s_cbranch_vccnz .LBB9_918
.LBB9_917:
	v_cmp_neq_f64_e32 vcc, 0, v[22:23]
	v_cndmask_b32_e64 v5, 0, 1, vcc
	s_mov_b64 s[10:11], -1
	global_store_byte v[2:3], v5, off
.LBB9_918:
	s_branch .LBB9_762
.LBB9_919:
	v_mov_b32_e32 v5, 5
	v_cmp_lt_i16_sdwa s[8:9], v30, v5 src0_sel:BYTE_0 src1_sel:DWORD
	s_mov_b64 s[4:5], -1
	s_and_b64 vcc, exec, s[8:9]
	s_cbranch_vccnz .LBB9_940
; %bb.920:
	v_mov_b32_e32 v5, 8
	v_cmp_lt_i16_sdwa s[8:9], v30, v5 src0_sel:BYTE_0 src1_sel:DWORD
	s_and_b64 vcc, exec, s[8:9]
	s_cbranch_vccnz .LBB9_930
; %bb.921:
	v_mov_b32_e32 v5, 9
	v_cmp_lt_i16_sdwa s[8:9], v30, v5 src0_sel:BYTE_0 src1_sel:DWORD
	s_and_b64 vcc, exec, s[8:9]
	s_cbranch_vccnz .LBB9_927
; %bb.922:
	v_cmp_gt_i16_sdwa s[8:9], v30, v5 src0_sel:BYTE_0 src1_sel:DWORD
	s_and_b64 vcc, exec, s[8:9]
	s_cbranch_vccz .LBB9_924
; %bb.923:
	v_mov_b32_e32 v24, 0
	v_mov_b32_e32 v25, v24
	global_store_dwordx4 v[2:3], v[22:25], off
	s_mov_b64 s[4:5], 0
.LBB9_924:
	s_andn2_b64 vcc, exec, s[4:5]
	s_cbranch_vccnz .LBB9_926
; %bb.925:
	v_cvt_f32_f64_e32 v6, v[22:23]
	v_mov_b32_e32 v7, 0
	global_store_dwordx2 v[2:3], v[6:7], off
.LBB9_926:
	s_mov_b64 s[4:5], 0
.LBB9_927:
	s_andn2_b64 vcc, exec, s[4:5]
	s_cbranch_vccnz .LBB9_929
; %bb.928:
	v_cvt_f32_f64_e32 v5, v[22:23]
	v_cvt_f16_f32_e32 v5, v5
	global_store_dword v[2:3], v5, off
.LBB9_929:
	s_mov_b64 s[4:5], 0
.LBB9_930:
	s_andn2_b64 vcc, exec, s[4:5]
	s_cbranch_vccnz .LBB9_939
; %bb.931:
	v_mov_b32_e32 v5, 6
	v_cmp_lt_i16_sdwa s[8:9], v30, v5 src0_sel:BYTE_0 src1_sel:DWORD
	s_mov_b64 s[4:5], -1
	s_and_b64 vcc, exec, s[8:9]
	s_cbranch_vccnz .LBB9_937
; %bb.932:
	v_cmp_gt_i16_sdwa s[8:9], v30, v5 src0_sel:BYTE_0 src1_sel:DWORD
	s_and_b64 vcc, exec, s[8:9]
	s_cbranch_vccz .LBB9_934
; %bb.933:
	global_store_dwordx2 v[2:3], v[22:23], off
	s_mov_b64 s[4:5], 0
.LBB9_934:
	s_andn2_b64 vcc, exec, s[4:5]
	s_cbranch_vccnz .LBB9_936
; %bb.935:
	v_cvt_f32_f64_e32 v5, v[22:23]
	global_store_dword v[2:3], v5, off
.LBB9_936:
	s_mov_b64 s[4:5], 0
.LBB9_937:
	s_andn2_b64 vcc, exec, s[4:5]
	s_cbranch_vccnz .LBB9_939
; %bb.938:
	v_cvt_f32_f64_e32 v5, v[22:23]
	v_cvt_f16_f32_e32 v5, v5
	global_store_short v[2:3], v5, off
.LBB9_939:
	s_mov_b64 s[4:5], 0
.LBB9_940:
	s_andn2_b64 vcc, exec, s[4:5]
	s_cbranch_vccnz .LBB9_956
; %bb.941:
	v_mov_b32_e32 v5, 2
	v_cmp_lt_i16_sdwa s[8:9], v30, v5 src0_sel:BYTE_0 src1_sel:DWORD
	s_mov_b64 s[4:5], -1
	s_and_b64 vcc, exec, s[8:9]
	s_cbranch_vccnz .LBB9_951
; %bb.942:
	v_mov_b32_e32 v5, 3
	v_cmp_lt_i16_sdwa s[8:9], v30, v5 src0_sel:BYTE_0 src1_sel:DWORD
	s_and_b64 vcc, exec, s[8:9]
	s_cbranch_vccnz .LBB9_948
; %bb.943:
	v_cmp_gt_i16_sdwa s[8:9], v30, v5 src0_sel:BYTE_0 src1_sel:DWORD
	s_and_b64 vcc, exec, s[8:9]
	s_cbranch_vccz .LBB9_945
; %bb.944:
	v_trunc_f64_e32 v[6:7], v[22:23]
	s_movk_i32 s4, 0xffe0
	v_ldexp_f64 v[8:9], v[6:7], s4
	v_floor_f64_e32 v[8:9], v[8:9]
	v_fmac_f64_e32 v[6:7], 0xc1f00000, v[8:9]
	v_cvt_i32_f64_e32 v11, v[8:9]
	v_cvt_u32_f64_e32 v10, v[6:7]
	global_store_dwordx2 v[2:3], v[10:11], off
	s_mov_b64 s[4:5], 0
.LBB9_945:
	s_andn2_b64 vcc, exec, s[4:5]
	s_cbranch_vccnz .LBB9_947
; %bb.946:
	v_cvt_i32_f64_e32 v5, v[22:23]
	global_store_dword v[2:3], v5, off
.LBB9_947:
	s_mov_b64 s[4:5], 0
.LBB9_948:
	s_andn2_b64 vcc, exec, s[4:5]
	s_cbranch_vccnz .LBB9_950
; %bb.949:
	v_cvt_i32_f64_e32 v5, v[22:23]
	global_store_short v[2:3], v5, off
.LBB9_950:
	s_mov_b64 s[4:5], 0
.LBB9_951:
	s_andn2_b64 vcc, exec, s[4:5]
	s_cbranch_vccnz .LBB9_956
; %bb.952:
	v_mov_b32_e32 v5, 0
	v_cmp_gt_i16_sdwa s[8:9], v30, v5 src0_sel:BYTE_0 src1_sel:DWORD
	s_mov_b64 s[4:5], -1
	s_and_b64 vcc, exec, s[8:9]
	s_cbranch_vccz .LBB9_954
; %bb.953:
	v_cvt_i32_f64_e32 v5, v[22:23]
	global_store_byte v[2:3], v5, off
	s_mov_b64 s[4:5], 0
.LBB9_954:
	s_andn2_b64 vcc, exec, s[4:5]
	s_cbranch_vccnz .LBB9_956
; %bb.955:
	v_trunc_f64_e32 v[6:7], v[22:23]
	s_movk_i32 s4, 0xffe0
	v_ldexp_f64 v[8:9], v[6:7], s4
	v_floor_f64_e32 v[8:9], v[8:9]
	v_fmac_f64_e32 v[6:7], 0xc1f00000, v[8:9]
	v_cvt_u32_f64_e32 v5, v[6:7]
	global_store_byte v[2:3], v5, off
.LBB9_956:
	s_branch .LBB9_763
.LBB9_957:
	s_mov_b64 s[4:5], 0
	s_mov_b64 s[8:9], 0
                                        ; implicit-def: $vgpr6
                                        ; implicit-def: $vgpr4_vgpr5
.LBB9_958:
	s_and_b64 s[34:35], s[8:9], exec
	s_andn2_b64 s[8:9], s[42:43], exec
	s_and_b64 s[6:7], s[6:7], exec
	s_and_b64 s[4:5], s[4:5], exec
	s_or_b64 s[42:43], s[8:9], s[6:7]
.LBB9_959:
	s_or_b64 exec, exec, s[40:41]
	s_and_saveexec_b64 s[6:7], s[42:43]
	s_cbranch_execz .LBB9_962
; %bb.960:
	; divergent unreachable
	s_or_b64 exec, exec, s[6:7]
	s_and_saveexec_b64 s[6:7], s[34:35]
	s_xor_b64 s[6:7], exec, s[6:7]
	s_cbranch_execnz .LBB9_963
.LBB9_961:
	s_or_b64 exec, exec, s[6:7]
	s_and_saveexec_b64 s[6:7], s[4:5]
	s_cbranch_execnz .LBB9_964
	s_branch .LBB9_1001
.LBB9_962:
	s_or_b64 exec, exec, s[6:7]
	s_and_saveexec_b64 s[6:7], s[34:35]
	s_xor_b64 s[6:7], exec, s[6:7]
	s_cbranch_execz .LBB9_961
.LBB9_963:
	v_cmp_neq_f64_e32 vcc, 0, v[0:1]
	v_cndmask_b32_e64 v2, 0, 1, vcc
	global_store_byte v[4:5], v2, off
	s_or_b64 exec, exec, s[6:7]
	s_and_saveexec_b64 s[6:7], s[4:5]
	s_cbranch_execz .LBB9_1001
.LBB9_964:
	v_cmp_gt_i16_e32 vcc, 5, v6
	s_mov_b64 s[4:5], -1
	s_cbranch_vccnz .LBB9_985
; %bb.965:
	v_cmp_gt_i16_e32 vcc, 8, v6
	s_cbranch_vccnz .LBB9_975
; %bb.966:
	v_cmp_gt_i16_e32 vcc, 9, v6
	s_cbranch_vccnz .LBB9_972
; %bb.967:
	v_cmp_lt_i16_e32 vcc, 9, v6
	s_cbranch_vccz .LBB9_969
; %bb.968:
	v_mov_b32_e32 v2, 0
	v_mov_b32_e32 v3, v2
	global_store_dwordx4 v[4:5], v[0:3], off
	s_mov_b64 s[4:5], 0
.LBB9_969:
	s_andn2_b64 vcc, exec, s[4:5]
	s_cbranch_vccnz .LBB9_971
; %bb.970:
	v_cvt_f32_f64_e32 v2, v[0:1]
	v_mov_b32_e32 v3, 0
	global_store_dwordx2 v[4:5], v[2:3], off
.LBB9_971:
	s_mov_b64 s[4:5], 0
.LBB9_972:
	s_andn2_b64 vcc, exec, s[4:5]
	s_cbranch_vccnz .LBB9_974
; %bb.973:
	v_cvt_f32_f64_e32 v2, v[0:1]
	v_cvt_f16_f32_e32 v2, v2
	global_store_dword v[4:5], v2, off
.LBB9_974:
	s_mov_b64 s[4:5], 0
.LBB9_975:
	s_andn2_b64 vcc, exec, s[4:5]
	s_cbranch_vccnz .LBB9_984
; %bb.976:
	v_cmp_gt_i16_e32 vcc, 6, v6
	s_mov_b64 s[4:5], -1
	s_cbranch_vccnz .LBB9_982
; %bb.977:
	v_cmp_lt_i16_e32 vcc, 6, v6
	s_cbranch_vccz .LBB9_979
; %bb.978:
	global_store_dwordx2 v[4:5], v[0:1], off
	s_mov_b64 s[4:5], 0
.LBB9_979:
	s_andn2_b64 vcc, exec, s[4:5]
	s_cbranch_vccnz .LBB9_981
; %bb.980:
	v_cvt_f32_f64_e32 v2, v[0:1]
	global_store_dword v[4:5], v2, off
.LBB9_981:
	s_mov_b64 s[4:5], 0
.LBB9_982:
	s_andn2_b64 vcc, exec, s[4:5]
	s_cbranch_vccnz .LBB9_984
; %bb.983:
	v_cvt_f32_f64_e32 v2, v[0:1]
	v_cvt_f16_f32_e32 v2, v2
	global_store_short v[4:5], v2, off
.LBB9_984:
	s_mov_b64 s[4:5], 0
.LBB9_985:
	s_andn2_b64 vcc, exec, s[4:5]
	s_cbranch_vccnz .LBB9_1001
; %bb.986:
	v_cmp_gt_i16_e32 vcc, 2, v6
	s_mov_b64 s[4:5], -1
	s_cbranch_vccnz .LBB9_996
; %bb.987:
	v_cmp_gt_i16_e32 vcc, 3, v6
	s_cbranch_vccnz .LBB9_993
; %bb.988:
	v_cmp_lt_i16_e32 vcc, 3, v6
	s_cbranch_vccz .LBB9_990
; %bb.989:
	v_trunc_f64_e32 v[2:3], v[0:1]
	s_movk_i32 s4, 0xffe0
	v_ldexp_f64 v[8:9], v[2:3], s4
	v_floor_f64_e32 v[8:9], v[8:9]
	v_fmac_f64_e32 v[2:3], 0xc1f00000, v[8:9]
	v_cvt_i32_f64_e32 v11, v[8:9]
	v_cvt_u32_f64_e32 v10, v[2:3]
	global_store_dwordx2 v[4:5], v[10:11], off
	s_mov_b64 s[4:5], 0
.LBB9_990:
	s_andn2_b64 vcc, exec, s[4:5]
	s_cbranch_vccnz .LBB9_992
; %bb.991:
	v_cvt_i32_f64_e32 v2, v[0:1]
	global_store_dword v[4:5], v2, off
.LBB9_992:
	s_mov_b64 s[4:5], 0
.LBB9_993:
	s_andn2_b64 vcc, exec, s[4:5]
	s_cbranch_vccnz .LBB9_995
; %bb.994:
	v_cvt_i32_f64_e32 v2, v[0:1]
	global_store_short v[4:5], v2, off
.LBB9_995:
	s_mov_b64 s[4:5], 0
.LBB9_996:
	s_andn2_b64 vcc, exec, s[4:5]
	s_cbranch_vccnz .LBB9_1001
; %bb.997:
	v_cmp_lt_i16_e32 vcc, 0, v6
	s_mov_b64 s[4:5], -1
	s_cbranch_vccz .LBB9_999
; %bb.998:
	v_cvt_i32_f64_e32 v2, v[0:1]
	global_store_byte v[4:5], v2, off
	s_mov_b64 s[4:5], 0
.LBB9_999:
	s_andn2_b64 vcc, exec, s[4:5]
	s_cbranch_vccnz .LBB9_1001
; %bb.1000:
	v_trunc_f64_e32 v[0:1], v[0:1]
	s_movk_i32 s4, 0xffe0
	v_ldexp_f64 v[2:3], v[0:1], s4
	v_floor_f64_e32 v[2:3], v[2:3]
	v_fmac_f64_e32 v[0:1], 0xc1f00000, v[2:3]
	v_cvt_u32_f64_e32 v0, v[0:1]
	global_store_byte v[4:5], v0, off
	s_endpgm
.LBB9_1001:
	s_endpgm
.LBB9_1002:
	s_or_saveexec_b64 s[14:15], s[14:15]
                                        ; implicit-def: $sgpr17
	s_xor_b64 exec, exec, s[14:15]
	s_cbranch_execz .LBB9_869
.LBB9_1003:
	s_mov_b32 s17, 0x46000000
	v_add_f32_e64 v6, |v5|, s17
	v_and_b32_e32 v6, 0xff, v6
	v_cmp_ne_u32_e32 vcc, 0, v6
	s_andn2_b64 s[12:13], s[12:13], exec
	s_and_b64 s[18:19], vcc, exec
	s_mov_b32 s17, 0
	s_or_b64 s[12:13], s[12:13], s[18:19]
	s_or_b64 exec, exec, s[14:15]
	v_mov_b32_e32 v7, s17
	s_and_saveexec_b64 s[14:15], s[12:13]
	s_cbranch_execnz .LBB9_870
	s_branch .LBB9_871
.LBB9_1004:
	s_trap 2
	s_or_b64 s[6:7], s[6:7], exec
	s_cbranch_execz .LBB9_917
	s_branch .LBB9_918
.LBB9_1005:
	s_or_saveexec_b64 s[10:11], s[10:11]
                                        ; implicit-def: $sgpr12
	s_xor_b64 exec, exec, s[10:11]
	s_cbranch_execz .LBB9_295
.LBB9_1006:
	s_mov_b32 s12, 0x46000000
	v_add_f32_e64 v3, |v2|, s12
	v_and_b32_e32 v3, 0xff, v3
	v_cmp_ne_u32_e32 vcc, 0, v3
	s_andn2_b64 s[8:9], s[8:9], exec
	s_and_b64 s[14:15], vcc, exec
	s_mov_b32 s12, 0
	s_or_b64 s[8:9], s[8:9], s[14:15]
	s_or_b64 exec, exec, s[10:11]
	v_mov_b32_e32 v6, s12
	s_and_saveexec_b64 s[10:11], s[8:9]
	s_cbranch_execnz .LBB9_296
	s_branch .LBB9_297
.LBB9_1007:
	s_or_saveexec_b64 s[14:15], s[14:15]
                                        ; implicit-def: $sgpr16
	s_xor_b64 exec, exec, s[14:15]
	s_cbranch_execz .LBB9_792
.LBB9_1008:
	s_mov_b32 s16, 0x46000000
	v_add_f32_e64 v3, |v2|, s16
	v_and_b32_e32 v3, 0xff, v3
	v_cmp_ne_u32_e32 vcc, 0, v3
	s_andn2_b64 s[12:13], s[12:13], exec
	s_and_b64 s[18:19], vcc, exec
	s_mov_b32 s16, 0
	s_or_b64 s[12:13], s[12:13], s[18:19]
	s_or_b64 exec, exec, s[14:15]
	v_mov_b32_e32 v7, s16
	s_and_saveexec_b64 s[14:15], s[12:13]
	s_cbranch_execnz .LBB9_793
	s_branch .LBB9_794
.LBB9_1009:
	s_or_saveexec_b64 s[12:13], s[12:13]
                                        ; implicit-def: $sgpr14
	s_xor_b64 exec, exec, s[12:13]
	s_cbranch_execz .LBB9_882
.LBB9_1010:
	s_mov_b32 s14, 0x42800000
	v_add_f32_e64 v6, |v5|, s14
	v_and_b32_e32 v6, 0xff, v6
	v_cmp_ne_u32_e32 vcc, 0, v6
	s_andn2_b64 s[10:11], s[10:11], exec
	s_and_b64 s[18:19], vcc, exec
	s_mov_b32 s14, 0
	s_or_b64 s[10:11], s[10:11], s[18:19]
	s_or_b64 exec, exec, s[12:13]
	v_mov_b32_e32 v7, s14
	s_and_saveexec_b64 s[12:13], s[10:11]
	s_cbranch_execnz .LBB9_883
	s_branch .LBB9_884
.LBB9_1011:
	s_mov_b64 s[8:9], 0
	s_or_b64 s[6:7], s[6:7], exec
	s_trap 2
	s_branch .LBB9_838
.LBB9_1012:
	s_or_saveexec_b64 s[10:11], s[10:11]
                                        ; implicit-def: $sgpr12
	s_xor_b64 exec, exec, s[10:11]
	s_cbranch_execz .LBB9_308
.LBB9_1013:
	s_mov_b32 s12, 0x42800000
	v_add_f32_e64 v3, |v2|, s12
	v_and_b32_e32 v3, 0xff, v3
	v_cmp_ne_u32_e32 vcc, 0, v3
	s_andn2_b64 s[8:9], s[8:9], exec
	s_and_b64 s[14:15], vcc, exec
	s_mov_b32 s12, 0
	s_or_b64 s[8:9], s[8:9], s[14:15]
	s_or_b64 exec, exec, s[10:11]
	v_mov_b32_e32 v6, s12
	s_and_saveexec_b64 s[10:11], s[8:9]
	s_cbranch_execnz .LBB9_309
	s_branch .LBB9_310
.LBB9_1014:
	s_or_saveexec_b64 s[10:11], s[10:11]
                                        ; implicit-def: $sgpr12
	s_xor_b64 exec, exec, s[10:11]
	s_cbranch_execz .LBB9_417
.LBB9_1015:
	s_mov_b32 s12, 0x46000000
	v_add_f32_e64 v3, |v2|, s12
	v_and_b32_e32 v3, 0xff, v3
	v_cmp_ne_u32_e32 vcc, 0, v3
	s_andn2_b64 s[8:9], s[8:9], exec
	s_and_b64 s[14:15], vcc, exec
	s_mov_b32 s12, 0
	s_or_b64 s[8:9], s[8:9], s[14:15]
	s_or_b64 exec, exec, s[10:11]
	v_mov_b32_e32 v7, s12
	s_and_saveexec_b64 s[10:11], s[8:9]
	s_cbranch_execnz .LBB9_418
	s_branch .LBB9_419
.LBB9_1016:
	s_or_saveexec_b64 s[12:13], s[12:13]
                                        ; implicit-def: $sgpr14
	s_xor_b64 exec, exec, s[12:13]
	s_cbranch_execz .LBB9_804
.LBB9_1017:
	s_mov_b32 s14, 0x42800000
	v_add_f32_e64 v3, |v2|, s14
	v_and_b32_e32 v3, 0xff, v3
	v_cmp_ne_u32_e32 vcc, 0, v3
	s_andn2_b64 s[10:11], s[10:11], exec
	s_and_b64 s[16:17], vcc, exec
	s_mov_b32 s14, 0
	s_or_b64 s[10:11], s[10:11], s[16:17]
	s_or_b64 exec, exec, s[12:13]
	v_mov_b32_e32 v7, s14
	s_and_saveexec_b64 s[12:13], s[10:11]
	s_cbranch_execnz .LBB9_805
	s_branch .LBB9_806
.LBB9_1018:
	s_or_saveexec_b64 s[12:13], s[12:13]
                                        ; implicit-def: $sgpr14
	s_xor_b64 exec, exec, s[12:13]
	s_cbranch_execz .LBB9_429
.LBB9_1019:
	s_mov_b32 s14, 0x42800000
	v_add_f32_e64 v3, |v2|, s14
	v_and_b32_e32 v3, 0xff, v3
	v_cmp_ne_u32_e32 vcc, 0, v3
	s_andn2_b64 s[10:11], s[10:11], exec
	s_and_b64 s[16:17], vcc, exec
	s_mov_b32 s14, 0
	s_or_b64 s[10:11], s[10:11], s[16:17]
	s_or_b64 exec, exec, s[12:13]
	v_mov_b32_e32 v7, s14
	s_and_saveexec_b64 s[12:13], s[10:11]
	s_cbranch_execnz .LBB9_430
	s_branch .LBB9_431
	.section	.rodata,"a",@progbits
	.p2align	6, 0x0
	.amdhsa_kernel _ZN2at6native32elementwise_kernel_manual_unrollILi128ELi4EZNS0_15gpu_kernel_implIZZZNS0_12_GLOBAL__N_130modified_bessel_k0_kernel_cudaERNS_18TensorIteratorBaseEENKUlvE_clEvENKUlvE_clEvEUldE_EEvS5_RKT_EUlibE_EEviT1_
		.amdhsa_group_segment_fixed_size 0
		.amdhsa_private_segment_fixed_size 0
		.amdhsa_kernarg_size 40
		.amdhsa_user_sgpr_count 8
		.amdhsa_user_sgpr_private_segment_buffer 1
		.amdhsa_user_sgpr_dispatch_ptr 0
		.amdhsa_user_sgpr_queue_ptr 0
		.amdhsa_user_sgpr_kernarg_segment_ptr 1
		.amdhsa_user_sgpr_dispatch_id 0
		.amdhsa_user_sgpr_flat_scratch_init 1
		.amdhsa_user_sgpr_kernarg_preload_length 0
		.amdhsa_user_sgpr_kernarg_preload_offset 0
		.amdhsa_user_sgpr_private_segment_size 0
		.amdhsa_uses_dynamic_stack 0
		.amdhsa_system_sgpr_private_segment_wavefront_offset 0
		.amdhsa_system_sgpr_workgroup_id_x 1
		.amdhsa_system_sgpr_workgroup_id_y 0
		.amdhsa_system_sgpr_workgroup_id_z 0
		.amdhsa_system_sgpr_workgroup_info 0
		.amdhsa_system_vgpr_workitem_id 0
		.amdhsa_next_free_vgpr 31
		.amdhsa_next_free_sgpr 56
		.amdhsa_accum_offset 32
		.amdhsa_reserve_vcc 1
		.amdhsa_reserve_flat_scratch 1
		.amdhsa_float_round_mode_32 0
		.amdhsa_float_round_mode_16_64 0
		.amdhsa_float_denorm_mode_32 3
		.amdhsa_float_denorm_mode_16_64 3
		.amdhsa_dx10_clamp 1
		.amdhsa_ieee_mode 1
		.amdhsa_fp16_overflow 0
		.amdhsa_tg_split 0
		.amdhsa_exception_fp_ieee_invalid_op 0
		.amdhsa_exception_fp_denorm_src 0
		.amdhsa_exception_fp_ieee_div_zero 0
		.amdhsa_exception_fp_ieee_overflow 0
		.amdhsa_exception_fp_ieee_underflow 0
		.amdhsa_exception_fp_ieee_inexact 0
		.amdhsa_exception_int_div_zero 0
	.end_amdhsa_kernel
	.section	.text._ZN2at6native32elementwise_kernel_manual_unrollILi128ELi4EZNS0_15gpu_kernel_implIZZZNS0_12_GLOBAL__N_130modified_bessel_k0_kernel_cudaERNS_18TensorIteratorBaseEENKUlvE_clEvENKUlvE_clEvEUldE_EEvS5_RKT_EUlibE_EEviT1_,"axG",@progbits,_ZN2at6native32elementwise_kernel_manual_unrollILi128ELi4EZNS0_15gpu_kernel_implIZZZNS0_12_GLOBAL__N_130modified_bessel_k0_kernel_cudaERNS_18TensorIteratorBaseEENKUlvE_clEvENKUlvE_clEvEUldE_EEvS5_RKT_EUlibE_EEviT1_,comdat
.Lfunc_end9:
	.size	_ZN2at6native32elementwise_kernel_manual_unrollILi128ELi4EZNS0_15gpu_kernel_implIZZZNS0_12_GLOBAL__N_130modified_bessel_k0_kernel_cudaERNS_18TensorIteratorBaseEENKUlvE_clEvENKUlvE_clEvEUldE_EEvS5_RKT_EUlibE_EEviT1_, .Lfunc_end9-_ZN2at6native32elementwise_kernel_manual_unrollILi128ELi4EZNS0_15gpu_kernel_implIZZZNS0_12_GLOBAL__N_130modified_bessel_k0_kernel_cudaERNS_18TensorIteratorBaseEENKUlvE_clEvENKUlvE_clEvEUldE_EEvS5_RKT_EUlibE_EEviT1_
                                        ; -- End function
	.section	.AMDGPU.csdata,"",@progbits
; Kernel info:
; codeLenInByte = 18632
; NumSgprs: 62
; NumVgprs: 31
; NumAgprs: 0
; TotalNumVgprs: 31
; ScratchSize: 0
; MemoryBound: 0
; FloatMode: 240
; IeeeMode: 1
; LDSByteSize: 0 bytes/workgroup (compile time only)
; SGPRBlocks: 7
; VGPRBlocks: 3
; NumSGPRsForWavesPerEU: 62
; NumVGPRsForWavesPerEU: 31
; AccumOffset: 32
; Occupancy: 8
; WaveLimiterHint : 0
; COMPUTE_PGM_RSRC2:SCRATCH_EN: 0
; COMPUTE_PGM_RSRC2:USER_SGPR: 8
; COMPUTE_PGM_RSRC2:TRAP_HANDLER: 0
; COMPUTE_PGM_RSRC2:TGID_X_EN: 1
; COMPUTE_PGM_RSRC2:TGID_Y_EN: 0
; COMPUTE_PGM_RSRC2:TGID_Z_EN: 0
; COMPUTE_PGM_RSRC2:TIDIG_COMP_CNT: 0
; COMPUTE_PGM_RSRC3_GFX90A:ACCUM_OFFSET: 7
; COMPUTE_PGM_RSRC3_GFX90A:TG_SPLIT: 0
	.text
	.p2align	2                               ; -- Begin function _ZN2at6native6invokeIZZZNS0_12_GLOBAL__N_130modified_bessel_k0_kernel_cudaERNS_18TensorIteratorBaseEENKUlvE_clEvENKUlvE_clEvEUldE_j15function_traitsIS7_EEENT1_11result_typeERKT_PrKPcPKT0_PKN3c1010ScalarTypeEi
	.type	_ZN2at6native6invokeIZZZNS0_12_GLOBAL__N_130modified_bessel_k0_kernel_cudaERNS_18TensorIteratorBaseEENKUlvE_clEvENKUlvE_clEvEUldE_j15function_traitsIS7_EEENT1_11result_typeERKT_PrKPcPKT0_PKN3c1010ScalarTypeEi,@function
_ZN2at6native6invokeIZZZNS0_12_GLOBAL__N_130modified_bessel_k0_kernel_cudaERNS_18TensorIteratorBaseEENKUlvE_clEvENKUlvE_clEvEUldE_j15function_traitsIS7_EEENT1_11result_typeERKT_PrKPcPKT0_PKN3c1010ScalarTypeEi: ; @_ZN2at6native6invokeIZZZNS0_12_GLOBAL__N_130modified_bessel_k0_kernel_cudaERNS_18TensorIteratorBaseEENKUlvE_clEvENKUlvE_clEvEUldE_j15function_traitsIS7_EEENT1_11result_typeERKT_PrKPcPKT0_PKN3c1010ScalarTypeEi
; %bb.0:
	s_waitcnt vmcnt(0) expcnt(0) lgkmcnt(0)
	v_add_co_u32_e32 v0, vcc, v0, v2
	v_mov_b32_e32 v2, 10
	v_addc_co_u32_e32 v1, vcc, 0, v1, vcc
	v_cmp_gt_i16_sdwa s[4:5], v3, v2 src0_sel:BYTE_0 src1_sel:DWORD
	s_mov_b64 s[6:7], 0
                                        ; implicit-def: $vgpr4_vgpr5
	s_and_saveexec_b64 s[8:9], s[4:5]
	s_xor_b64 s[4:5], exec, s[8:9]
	s_cbranch_execnz .LBB10_4
; %bb.1:
	s_andn2_saveexec_b64 s[4:5], s[4:5]
	s_cbranch_execnz .LBB10_10
.LBB10_2:
	s_or_b64 exec, exec, s[4:5]
                                        ; implicit-def: $vgpr0_vgpr1
	s_and_saveexec_b64 s[4:5], s[6:7]
	s_cbranch_execnz .LBB10_51
.LBB10_3:
	s_or_b64 exec, exec, s[4:5]
	s_waitcnt vmcnt(0) lgkmcnt(0)
	s_setpc_b64 s[30:31]
.LBB10_4:
	v_mov_b32_e32 v2, 25
	v_cmp_gt_i16_sdwa s[10:11], v3, v2 src0_sel:BYTE_0 src1_sel:DWORD
	s_mov_b64 s[12:13], 0
	s_mov_b64 s[8:9], 0
                                        ; implicit-def: $vgpr4_vgpr5
	s_and_saveexec_b64 s[14:15], s[10:11]
	s_xor_b64 s[10:11], exec, s[14:15]
	s_cbranch_execnz .LBB10_64
; %bb.5:
	s_andn2_saveexec_b64 s[10:11], s[10:11]
	s_cbranch_execnz .LBB10_95
.LBB10_6:
	s_or_b64 exec, exec, s[10:11]
	s_and_saveexec_b64 s[10:11], s[12:13]
	s_cbranch_execnz .LBB10_118
.LBB10_7:
	s_or_b64 exec, exec, s[10:11]
	s_and_saveexec_b64 s[10:11], s[6:7]
	s_xor_b64 s[6:7], exec, s[10:11]
	s_cbranch_execz .LBB10_9
.LBB10_8:
	flat_load_ubyte v0, v[0:1]
	v_mov_b32_e32 v1, 0x3ff00000
	v_mov_b32_e32 v4, 0
	s_or_b64 s[8:9], s[8:9], exec
	s_waitcnt vmcnt(0) lgkmcnt(0)
	v_cmp_ne_u16_e32 vcc, 0, v0
	v_cndmask_b32_e32 v5, 0, v1, vcc
.LBB10_9:
	s_or_b64 exec, exec, s[6:7]
	s_and_b64 s[6:7], s[8:9], exec
                                        ; implicit-def: $vgpr3
                                        ; implicit-def: $vgpr0_vgpr1
	s_andn2_saveexec_b64 s[4:5], s[4:5]
	s_cbranch_execz .LBB10_2
.LBB10_10:
	v_mov_b32_e32 v2, 4
	v_cmp_gt_i16_sdwa s[8:9], v3, v2 src0_sel:BYTE_0 src1_sel:DWORD
                                        ; implicit-def: $vgpr4_vgpr5
	s_and_saveexec_b64 s[10:11], s[8:9]
	s_xor_b64 s[8:9], exec, s[10:11]
	s_cbranch_execz .LBB10_32
; %bb.11:
	v_mov_b32_e32 v2, 7
	v_cmp_gt_i16_sdwa s[10:11], v3, v2 src0_sel:BYTE_0 src1_sel:DWORD
                                        ; implicit-def: $vgpr4_vgpr5
	s_and_saveexec_b64 s[12:13], s[10:11]
	s_xor_b64 s[10:11], exec, s[12:13]
	s_cbranch_execz .LBB10_21
; %bb.12:
	;; [unrolled: 7-line block ×4, first 2 shown]
	flat_load_dwordx2 v[4:5], v[0:1]
                                        ; implicit-def: $vgpr0_vgpr1
.LBB10_15:
	s_andn2_saveexec_b64 s[14:15], s[14:15]
	s_cbranch_execz .LBB10_17
; %bb.16:
	flat_load_dword v0, v[0:1]
	s_waitcnt vmcnt(0) lgkmcnt(0)
	v_cvt_f64_f32_e32 v[4:5], v0
.LBB10_17:
	s_or_b64 exec, exec, s[14:15]
                                        ; implicit-def: $vgpr0_vgpr1
.LBB10_18:
	s_andn2_saveexec_b64 s[12:13], s[12:13]
	s_cbranch_execz .LBB10_20
; %bb.19:
	flat_load_dword v0, v[0:1]
	s_waitcnt vmcnt(0) lgkmcnt(0)
	v_cvt_f32_f16_e32 v0, v0
	v_cvt_f64_f32_e32 v[4:5], v0
.LBB10_20:
	s_or_b64 exec, exec, s[12:13]
                                        ; implicit-def: $vgpr0_vgpr1
                                        ; implicit-def: $vgpr3
.LBB10_21:
	s_andn2_saveexec_b64 s[10:11], s[10:11]
	s_cbranch_execz .LBB10_31
; %bb.22:
	v_mov_b32_e32 v2, 5
	v_cmp_gt_i16_sdwa s[12:13], v3, v2 src0_sel:BYTE_0 src1_sel:DWORD
                                        ; implicit-def: $vgpr4_vgpr5
	s_and_saveexec_b64 s[14:15], s[12:13]
	s_xor_b64 s[12:13], exec, s[14:15]
	s_cbranch_execz .LBB10_28
; %bb.23:
	v_mov_b32_e32 v2, 6
	v_cmp_gt_i16_sdwa s[14:15], v3, v2 src0_sel:BYTE_0 src1_sel:DWORD
                                        ; implicit-def: $vgpr4_vgpr5
	s_and_saveexec_b64 s[16:17], s[14:15]
	s_xor_b64 s[14:15], exec, s[16:17]
	s_cbranch_execz .LBB10_25
; %bb.24:
	s_waitcnt vmcnt(0) lgkmcnt(0)
	flat_load_dwordx2 v[4:5], v[0:1]
                                        ; implicit-def: $vgpr0_vgpr1
.LBB10_25:
	s_andn2_saveexec_b64 s[14:15], s[14:15]
	s_cbranch_execz .LBB10_27
; %bb.26:
	flat_load_dword v0, v[0:1]
	s_waitcnt vmcnt(0) lgkmcnt(0)
	v_cvt_f64_f32_e32 v[4:5], v0
.LBB10_27:
	s_or_b64 exec, exec, s[14:15]
                                        ; implicit-def: $vgpr0_vgpr1
.LBB10_28:
	s_andn2_saveexec_b64 s[12:13], s[12:13]
	s_cbranch_execz .LBB10_30
; %bb.29:
	flat_load_ushort v0, v[0:1]
	s_waitcnt vmcnt(0) lgkmcnt(0)
	v_cvt_f32_f16_e32 v0, v0
	v_cvt_f64_f32_e32 v[4:5], v0
.LBB10_30:
	s_or_b64 exec, exec, s[12:13]
.LBB10_31:
	s_or_b64 exec, exec, s[10:11]
                                        ; implicit-def: $vgpr3
                                        ; implicit-def: $vgpr0_vgpr1
.LBB10_32:
	s_andn2_saveexec_b64 s[8:9], s[8:9]
	s_cbranch_execz .LBB10_50
; %bb.33:
	v_mov_b32_e32 v2, 1
	v_cmp_gt_i16_sdwa s[10:11], v3, v2 src0_sel:BYTE_0 src1_sel:DWORD
                                        ; implicit-def: $vgpr4_vgpr5
	s_and_saveexec_b64 s[12:13], s[10:11]
	s_xor_b64 s[10:11], exec, s[12:13]
	s_cbranch_execz .LBB10_43
; %bb.34:
	v_mov_b32_e32 v2, 2
	v_cmp_gt_i16_sdwa s[12:13], v3, v2 src0_sel:BYTE_0 src1_sel:DWORD
                                        ; implicit-def: $vgpr4_vgpr5
	s_and_saveexec_b64 s[14:15], s[12:13]
	s_xor_b64 s[12:13], exec, s[14:15]
	;; [unrolled: 7-line block ×3, first 2 shown]
	s_cbranch_execz .LBB10_37
; %bb.36:
	flat_load_dwordx2 v[0:1], v[0:1]
	s_waitcnt vmcnt(0) lgkmcnt(0)
	v_cvt_f64_i32_e32 v[2:3], v1
	v_ldexp_f64 v[2:3], v[2:3], 32
	v_cvt_f64_u32_e32 v[0:1], v0
	v_add_f64 v[4:5], v[2:3], v[0:1]
                                        ; implicit-def: $vgpr0_vgpr1
.LBB10_37:
	s_andn2_saveexec_b64 s[14:15], s[14:15]
	s_cbranch_execz .LBB10_39
; %bb.38:
	flat_load_dword v0, v[0:1]
	s_waitcnt vmcnt(0) lgkmcnt(0)
	v_cvt_f64_i32_e32 v[4:5], v0
.LBB10_39:
	s_or_b64 exec, exec, s[14:15]
                                        ; implicit-def: $vgpr0_vgpr1
.LBB10_40:
	s_andn2_saveexec_b64 s[12:13], s[12:13]
	s_cbranch_execz .LBB10_42
; %bb.41:
	flat_load_sshort v0, v[0:1]
	s_waitcnt vmcnt(0) lgkmcnt(0)
	v_cvt_f64_i32_e32 v[4:5], v0
.LBB10_42:
	s_or_b64 exec, exec, s[12:13]
                                        ; implicit-def: $vgpr0_vgpr1
                                        ; implicit-def: $vgpr3
.LBB10_43:
	s_andn2_saveexec_b64 s[10:11], s[10:11]
	s_cbranch_execz .LBB10_49
; %bb.44:
	v_mov_b32_e32 v2, 0
	v_cmp_gt_i16_sdwa s[12:13], v3, v2 src0_sel:BYTE_0 src1_sel:DWORD
                                        ; implicit-def: $vgpr4_vgpr5
	s_and_saveexec_b64 s[14:15], s[12:13]
	s_xor_b64 s[12:13], exec, s[14:15]
	s_cbranch_execz .LBB10_46
; %bb.45:
	flat_load_sbyte v0, v[0:1]
	s_waitcnt vmcnt(0) lgkmcnt(0)
	v_cvt_f64_i32_e32 v[4:5], v0
                                        ; implicit-def: $vgpr0_vgpr1
.LBB10_46:
	s_andn2_saveexec_b64 s[12:13], s[12:13]
	s_cbranch_execz .LBB10_48
; %bb.47:
	flat_load_ubyte v0, v[0:1]
	s_waitcnt vmcnt(0) lgkmcnt(0)
	v_cvt_f64_u32_e32 v[4:5], v0
.LBB10_48:
	s_or_b64 exec, exec, s[12:13]
.LBB10_49:
	s_or_b64 exec, exec, s[10:11]
.LBB10_50:
	s_or_b64 exec, exec, s[8:9]
	s_or_b64 s[6:7], s[6:7], exec
	s_or_b64 exec, exec, s[4:5]
                                        ; implicit-def: $vgpr0_vgpr1
	s_and_saveexec_b64 s[4:5], s[6:7]
	s_cbranch_execz .LBB10_3
.LBB10_51:
	v_mov_b32_e32 v0, 0
	s_waitcnt vmcnt(0) lgkmcnt(0)
	v_cmp_neq_f64_e32 vcc, 0, v[4:5]
	v_mov_b32_e32 v1, 0x7ff00000
	s_and_saveexec_b64 s[6:7], vcc
	s_cbranch_execz .LBB10_63
; %bb.52:
	v_mov_b32_e32 v0, 0
	v_cmp_ngt_f64_e32 vcc, 0, v[4:5]
	v_mov_b32_e32 v1, 0x7ff80000
	s_and_saveexec_b64 s[8:9], vcc
	s_cbranch_execz .LBB10_62
; %bb.53:
	v_cmp_ge_f64_e32 vcc, 2.0, v[4:5]
                                        ; implicit-def: $vgpr0_vgpr1
	s_and_saveexec_b64 s[10:11], vcc
	s_xor_b64 s[10:11], exec, s[10:11]
	s_cbranch_execz .LBB10_59
; %bb.54:
	s_mov_b32 s12, 0
	s_mov_b32 s13, 0x40200000
	v_mul_f64 v[0:1], v[4:5], 0.5
	v_cmp_ge_f64_e32 vcc, s[12:13], v[4:5]
                                        ; implicit-def: $vgpr2_vgpr3
	s_and_saveexec_b64 s[12:13], vcc
	s_xor_b64 s[12:13], exec, s[12:13]
	s_cbranch_execz .LBB10_56
; %bb.55:
	s_mov_b32 s14, 0x2134d0ef
	v_add_f64 v[2:3], v[0:1], -2.0
	v_mov_b32_e32 v6, 0x977da589
	v_mov_b32_e32 v7, 0x3c833362
	s_mov_b32 s15, 0xbc545cb7
	v_fmac_f64_e32 v[6:7], s[14:15], v[2:3]
	v_mov_b32_e32 v8, 0x2134d0ef
	v_mov_b32_e32 v9, 0x3c545cb7
	s_mov_b32 s14, 0x721ebbb4
	v_fmac_f64_e32 v[8:9], v[2:3], v[6:7]
	s_mov_b32 s15, 0xbcb184eb
	v_add_f64 v[8:9], v[8:9], s[14:15]
	s_mov_b32 s14, 0x93f65eba
	v_fma_f64 v[6:7], v[2:3], v[8:9], -v[6:7]
	s_mov_b32 s15, 0x3cdee6d8
	v_add_f64 v[6:7], v[6:7], s[14:15]
	s_mov_b32 s14, 0xc297fbeb
	v_fma_f64 v[8:9], v[2:3], v[6:7], -v[8:9]
	;; [unrolled: 4-line block ×27, first 2 shown]
	s_mov_b32 s15, 0x3fe5a84e
	v_add_f64 v[2:3], v[2:3], s[14:15]
	s_mov_b32 s14, 0x652b82fe
	s_mov_b32 s15, 0x3ff71547
	v_mul_f64 v[8:9], v[4:5], s[14:15]
	s_mov_b32 s14, 0xfefa39ef
	v_rndne_f64_e32 v[8:9], v[8:9]
	s_mov_b32 s15, 0xbfe62e42
	v_fma_f64 v[10:11], s[14:15], v[8:9], v[4:5]
	s_mov_b32 s14, 0x3b39803f
	s_mov_b32 s15, 0xbc7abc9e
	v_fmac_f64_e32 v[10:11], s[14:15], v[8:9]
	s_mov_b32 s14, 0x6a5dcb37
	v_mov_b32_e32 v12, 0xfca7ab0c
	v_mov_b32_e32 v13, 0x3e928af3
	s_mov_b32 s15, 0x3e5ade15
	v_fmac_f64_e32 v[12:13], s[14:15], v[10:11]
	v_mov_b32_e32 v14, 0x623fde64
	v_mov_b32_e32 v15, 0x3ec71dee
	v_fmac_f64_e32 v[14:15], v[10:11], v[12:13]
	v_mov_b32_e32 v12, 0x7c89e6b0
	v_mov_b32_e32 v13, 0x3efa0199
	;; [unrolled: 3-line block ×8, first 2 shown]
	v_fmac_f64_e32 v[12:13], v[10:11], v[14:15]
	v_fma_f64 v[12:13], v[10:11], v[12:13], 1.0
	s_mov_b32 s14, 0
	v_fma_f64 v[10:11], v[10:11], v[12:13], 1.0
	v_cvt_i32_f64_e32 v8, v[8:9]
	s_mov_b32 s15, 0x40900000
	v_ldexp_f64 v[8:9], v[10:11], v8
	v_mov_b32_e32 v10, 0x7ff00000
	v_cmp_nlt_f64_e32 vcc, s[14:15], v[4:5]
	v_add_f64 v[2:3], v[2:3], -v[6:7]
	v_cndmask_b32_e32 v9, v10, v9, vcc
	v_cndmask_b32_e32 v8, 0, v8, vcc
	v_mul_f64 v[2:3], v[2:3], 0.5
	v_mul_f64 v[2:3], v[8:9], v[2:3]
.LBB10_56:
	s_andn2_saveexec_b64 s[12:13], s[12:13]
	s_cbranch_execz .LBB10_58
; %bb.57:
	s_mov_b32 s14, 0
	s_mov_b32 s15, 0x40400000
	v_div_scale_f64 v[2:3], s[16:17], v[4:5], v[4:5], s[14:15]
	v_rcp_f64_e32 v[6:7], v[2:3]
	v_mov_b32_e32 v12, 0xfca7ab0c
	v_mov_b32_e32 v13, 0x3e928af3
	;; [unrolled: 1-line block ×3, first 2 shown]
	v_fma_f64 v[8:9], -v[2:3], v[6:7], 1.0
	v_fmac_f64_e32 v[6:7], v[6:7], v[8:9]
	v_fma_f64 v[8:9], -v[2:3], v[6:7], 1.0
	v_fmac_f64_e32 v[6:7], v[6:7], v[8:9]
	v_div_scale_f64 v[8:9], vcc, s[14:15], v[4:5], s[14:15]
	v_mul_f64 v[10:11], v[8:9], v[6:7]
	v_fma_f64 v[2:3], -v[2:3], v[10:11], v[8:9]
	v_mov_b32_e32 v8, 0x54ca8b19
	s_nop 0
	v_div_fmas_f64 v[2:3], v[2:3], v[6:7], v[10:11]
	v_div_fixup_f64 v[2:3], v[2:3], v[4:5], s[14:15]
	s_mov_b32 s14, 0x54ca8b19
	v_add_f64 v[2:3], v[2:3], -2.0
	v_mov_b32_e32 v6, 0x66119130
	v_mov_b32_e32 v7, 0xbc5646da
	s_mov_b32 s15, 0xbc60adb7
	v_fmac_f64_e32 v[6:7], s[14:15], v[2:3]
	v_mov_b32_e32 v9, 0x3c60adb7
	s_mov_b32 s14, 0x12d98421
	v_fmac_f64_e32 v[8:9], v[2:3], v[6:7]
	s_mov_b32 s15, 0x3c89be18
	v_add_f64 v[8:9], v[8:9], s[14:15]
	s_mov_b32 s14, 0x76041cd
	v_fma_f64 v[6:7], v[2:3], v[8:9], -v[6:7]
	s_mov_b32 s15, 0x3c83f3dd
	v_add_f64 v[6:7], v[6:7], s[14:15]
	s_mov_b32 s14, 0xabd21fe4
	v_fma_f64 v[8:9], v[2:3], v[6:7], -v[8:9]
	;; [unrolled: 4-line block ×22, first 2 shown]
	s_mov_b32 s15, 0x3fe9be62
	v_add_f64 v[2:3], v[2:3], s[14:15]
	s_mov_b32 s14, 0x652b82fe
	s_mov_b32 s15, 0x3ff71547
	v_mul_f64 v[8:9], v[4:5], s[14:15]
	s_mov_b32 s14, 0xfefa39ef
	v_rndne_f64_e32 v[8:9], v[8:9]
	s_mov_b32 s15, 0xbfe62e42
	v_fma_f64 v[10:11], s[14:15], v[8:9], v[4:5]
	s_mov_b32 s14, 0x3b39803f
	s_mov_b32 s15, 0xbc7abc9e
	v_fmac_f64_e32 v[10:11], s[14:15], v[8:9]
	s_mov_b32 s14, 0x6a5dcb37
	s_mov_b32 s15, 0x3e5ade15
	v_fmac_f64_e32 v[12:13], s[14:15], v[10:11]
	v_mov_b32_e32 v15, 0x3ec71dee
	v_fmac_f64_e32 v[14:15], v[10:11], v[12:13]
	v_mov_b32_e32 v12, 0x7c89e6b0
	v_mov_b32_e32 v13, 0x3efa0199
	v_fmac_f64_e32 v[12:13], v[10:11], v[14:15]
	v_mov_b32_e32 v14, 0x14761f6e
	;; [unrolled: 3-line block ×7, first 2 shown]
	v_mov_b32_e32 v13, 0x3fe00000
	v_fmac_f64_e32 v[12:13], v[10:11], v[14:15]
	s_mov_b32 s14, 0
	v_fma_f64 v[12:13], v[10:11], v[12:13], 1.0
	s_mov_b32 s15, 0x40900000
	v_fma_f64 v[10:11], v[10:11], v[12:13], 1.0
	v_cvt_i32_f64_e32 v8, v[8:9]
	v_cmp_nlt_f64_e32 vcc, s[14:15], v[4:5]
	s_mov_b32 s14, 0
	v_ldexp_f64 v[8:9], v[10:11], v8
	v_mov_b32_e32 v10, 0x7ff00000
	s_brev_b32 s15, 8
	v_cndmask_b32_e32 v9, v10, v9, vcc
	v_cndmask_b32_e32 v8, 0, v8, vcc
	v_cmp_gt_f64_e32 vcc, s[14:15], v[4:5]
	v_cndmask_b32_e64 v10, 0, 1, vcc
	v_lshlrev_b32_e32 v10, 8, v10
	v_ldexp_f64 v[10:11], v[4:5], v10
	v_rsq_f64_e32 v[12:13], v[10:11]
	v_add_f64 v[2:3], v[2:3], -v[6:7]
	v_mul_f64 v[2:3], v[2:3], 0.5
	v_mul_f64 v[2:3], v[8:9], v[2:3]
	v_mul_f64 v[6:7], v[10:11], v[12:13]
	v_mul_f64 v[8:9], v[12:13], 0.5
	v_fma_f64 v[12:13], -v[8:9], v[6:7], 0.5
	v_fmac_f64_e32 v[6:7], v[6:7], v[12:13]
	v_fma_f64 v[14:15], -v[6:7], v[6:7], v[10:11]
	v_fmac_f64_e32 v[8:9], v[8:9], v[12:13]
	v_fmac_f64_e32 v[6:7], v[14:15], v[8:9]
	v_fma_f64 v[12:13], -v[6:7], v[6:7], v[10:11]
	v_fmac_f64_e32 v[6:7], v[12:13], v[8:9]
	v_mov_b32_e32 v8, 0xffffff80
	v_cndmask_b32_e32 v8, 0, v8, vcc
	v_ldexp_f64 v[6:7], v[6:7], v8
	v_mov_b32_e32 v8, 0x260
	v_cmp_class_f64_e32 vcc, v[10:11], v8
	v_cndmask_b32_e32 v7, v7, v11, vcc
	v_cndmask_b32_e32 v6, v6, v10, vcc
	v_div_scale_f64 v[8:9], s[14:15], v[6:7], v[6:7], v[2:3]
	v_rcp_f64_e32 v[10:11], v[8:9]
	v_fma_f64 v[12:13], -v[8:9], v[10:11], 1.0
	v_fmac_f64_e32 v[10:11], v[10:11], v[12:13]
	v_fma_f64 v[12:13], -v[8:9], v[10:11], 1.0
	v_fmac_f64_e32 v[10:11], v[10:11], v[12:13]
	v_div_scale_f64 v[12:13], vcc, v[2:3], v[6:7], v[2:3]
	v_mul_f64 v[14:15], v[12:13], v[10:11]
	v_fma_f64 v[8:9], -v[8:9], v[14:15], v[12:13]
	s_nop 1
	v_div_fmas_f64 v[8:9], v[8:9], v[10:11], v[14:15]
	v_div_fixup_f64 v[2:3], v[8:9], v[6:7], v[2:3]
.LBB10_58:
	s_or_b64 exec, exec, s[12:13]
	s_mov_b32 s12, 0xe6a7fd77
	v_fma_f64 v[4:5], v[4:5], v[4:5], -2.0
	v_mov_b32_e32 v6, 0xc384c2aa
	v_mov_b32_e32 v7, 0x3d27fb0a
	s_mov_b32 s13, 0x3ca3cee1
	v_fmac_f64_e32 v[6:7], s[12:13], v[4:5]
	v_mov_b32_e32 v8, 0xe6a7fd77
	v_mov_b32_e32 v9, 0xbca3cee1
	s_mov_b32 s12, 0x47512144
	v_fmac_f64_e32 v[8:9], v[4:5], v[6:7]
	s_mov_b32 s13, 0x3da6c25c
	v_add_f64 v[8:9], v[8:9], s[12:13]
	s_mov_b32 s12, 0x67e58a13
	v_fma_f64 v[6:7], v[4:5], v[8:9], -v[6:7]
	s_mov_b32 s13, 0x3e205c13
	v_add_f64 v[6:7], v[6:7], s[12:13]
	s_mov_b32 s12, 0xe7f95efc
	v_fma_f64 v[8:9], v[4:5], v[6:7], -v[8:9]
	;; [unrolled: 4-line block ×7, first 2 shown]
	s_mov_b32 s13, 0xbfe12166
	v_add_f64 v[4:5], v[4:5], s[12:13]
	s_mov_b32 s12, 0x55555555
	v_add_f64 v[4:5], v[4:5], -v[6:7]
	v_frexp_mant_f64_e32 v[6:7], v[0:1]
	s_mov_b32 s13, 0x3fe55555
	v_mov_b32_e32 v8, 0x3ff00000
	v_cmp_gt_f64_e32 vcc, s[12:13], v[6:7]
	v_cndmask_b32_e64 v9, v8, 2.0, vcc
	v_mov_b32_e32 v8, 0
	v_mul_f64 v[6:7], v[6:7], v[8:9]
	v_frexp_exp_i32_f64_e32 v10, v[0:1]
	v_add_f64 v[8:9], v[6:7], 1.0
	v_subbrev_co_u32_e32 v20, vcc, 0, v10, vcc
	v_rcp_f64_e32 v[10:11], v[8:9]
	v_add_f64 v[14:15], v[8:9], -1.0
	v_add_f64 v[12:13], v[6:7], -1.0
	v_add_f64 v[6:7], v[6:7], -v[14:15]
	v_fma_f64 v[14:15], -v[8:9], v[10:11], 1.0
	v_fmac_f64_e32 v[10:11], v[14:15], v[10:11]
	v_fma_f64 v[14:15], -v[8:9], v[10:11], 1.0
	v_fmac_f64_e32 v[10:11], v[14:15], v[10:11]
	v_mul_f64 v[14:15], v[12:13], v[10:11]
	v_mul_f64 v[16:17], v[8:9], v[14:15]
	v_fma_f64 v[8:9], v[14:15], v[8:9], -v[16:17]
	v_fmac_f64_e32 v[8:9], v[14:15], v[6:7]
	v_add_f64 v[6:7], v[16:17], v[8:9]
	v_add_f64 v[18:19], v[12:13], -v[6:7]
	v_add_f64 v[16:17], v[6:7], -v[16:17]
	;; [unrolled: 1-line block ×5, first 2 shown]
	v_add_f64 v[6:7], v[8:9], v[6:7]
	v_add_f64 v[6:7], v[18:19], v[6:7]
	v_mul_f64 v[6:7], v[10:11], v[6:7]
	v_add_f64 v[8:9], v[14:15], v[6:7]
	v_add_f64 v[10:11], v[8:9], -v[14:15]
	s_mov_b32 s12, 0xbf559e2b
	v_add_f64 v[6:7], v[6:7], -v[10:11]
	v_mul_f64 v[10:11], v[8:9], v[8:9]
	v_mov_b32_e32 v12, 0x6b47b09a
	v_mov_b32_e32 v13, 0x3fc38538
	s_mov_b32 s13, 0x3fc3ab76
	v_fmac_f64_e32 v[12:13], s[12:13], v[10:11]
	v_mov_b32_e32 v14, 0xd7f4df2e
	v_mov_b32_e32 v15, 0x3fc7474d
	v_fmac_f64_e32 v[14:15], v[10:11], v[12:13]
	v_mov_b32_e32 v12, 0x16291751
	v_mov_b32_e32 v13, 0x3fcc71c0
	;; [unrolled: 3-line block ×5, first 2 shown]
	v_fmac_f64_e32 v[14:15], v[10:11], v[12:13]
	v_ldexp_f64 v[12:13], v[8:9], 1
	v_mul_f64 v[8:9], v[8:9], v[10:11]
	v_mul_f64 v[8:9], v[8:9], v[14:15]
	v_add_f64 v[10:11], v[12:13], v[8:9]
	v_add_f64 v[12:13], v[10:11], -v[12:13]
	v_ldexp_f64 v[6:7], v[6:7], 1
	v_add_f64 v[8:9], v[8:9], -v[12:13]
	v_add_f64 v[6:7], v[6:7], v[8:9]
	v_add_f64 v[8:9], v[10:11], v[6:7]
	v_add_f64 v[10:11], v[8:9], -v[10:11]
	s_mov_b32 s12, 0xfefa39ef
	v_add_f64 v[6:7], v[6:7], -v[10:11]
	v_cvt_f64_i32_e32 v[10:11], v20
	s_mov_b32 s13, 0x3fe62e42
	v_mul_f64 v[12:13], v[10:11], s[12:13]
	v_fma_f64 v[14:15], v[10:11], s[12:13], -v[12:13]
	s_mov_b32 s12, 0x3b39803f
	s_mov_b32 s13, 0x3c7abc9e
	v_fmac_f64_e32 v[14:15], s[12:13], v[10:11]
	v_add_f64 v[10:11], v[12:13], v[14:15]
	v_add_f64 v[12:13], v[10:11], -v[12:13]
	v_add_f64 v[12:13], v[14:15], -v[12:13]
	v_add_f64 v[14:15], v[10:11], v[8:9]
	v_add_f64 v[16:17], v[14:15], -v[10:11]
	v_add_f64 v[18:19], v[14:15], -v[16:17]
	;; [unrolled: 1-line block ×4, first 2 shown]
	v_add_f64 v[8:9], v[8:9], v[10:11]
	v_add_f64 v[10:11], v[12:13], v[6:7]
	v_add_f64 v[16:17], v[10:11], -v[12:13]
	v_add_f64 v[18:19], v[10:11], -v[16:17]
	v_add_f64 v[8:9], v[10:11], v[8:9]
	v_add_f64 v[12:13], v[12:13], -v[18:19]
	v_add_f64 v[6:7], v[6:7], -v[16:17]
	v_add_f64 v[10:11], v[14:15], v[8:9]
	v_add_f64 v[6:7], v[6:7], v[12:13]
	v_add_f64 v[12:13], v[10:11], -v[14:15]
	v_add_f64 v[8:9], v[8:9], -v[12:13]
	s_mov_b32 s12, 0
	v_add_f64 v[6:7], v[6:7], v[8:9]
	s_mov_b32 s13, 0x7ff00000
	v_add_f64 v[6:7], v[10:11], v[6:7]
	v_cmp_eq_f64_e32 vcc, s[12:13], v[0:1]
	v_cndmask_b32_e32 v6, v6, v0, vcc
	v_cndmask_b32_e32 v7, v7, v1, vcc
	v_mov_b32_e32 v8, 0xfff00000
	v_cmp_neq_f64_e32 vcc, 0, v[0:1]
	v_cndmask_b32_e32 v1, v8, v7, vcc
	v_cndmask_b32_e32 v0, 0, v6, vcc
	v_mul_f64 v[0:1], v[0:1], v[2:3]
	v_fma_f64 v[0:1], v[4:5], 0.5, -v[0:1]
                                        ; implicit-def: $vgpr4_vgpr5
.LBB10_59:
	s_andn2_saveexec_b64 s[10:11], s[10:11]
	s_cbranch_execz .LBB10_61
; %bb.60:
	s_mov_b32 s12, 0
	s_mov_b32 s13, 0x40200000
	v_div_scale_f64 v[0:1], s[14:15], v[4:5], v[4:5], s[12:13]
	v_rcp_f64_e32 v[2:3], v[0:1]
	v_mov_b32_e32 v10, 0xfca7ab0c
	v_mov_b32_e32 v11, 0x3e928af3
	v_mov_b32_e32 v12, 0x623fde64
	v_fma_f64 v[6:7], -v[0:1], v[2:3], 1.0
	v_fmac_f64_e32 v[2:3], v[2:3], v[6:7]
	v_fma_f64 v[6:7], -v[0:1], v[2:3], 1.0
	v_fmac_f64_e32 v[2:3], v[2:3], v[6:7]
	v_div_scale_f64 v[6:7], vcc, s[12:13], v[4:5], s[12:13]
	v_mul_f64 v[8:9], v[6:7], v[2:3]
	v_fma_f64 v[0:1], -v[0:1], v[8:9], v[6:7]
	v_mov_b32_e32 v6, 0xcf8c9ee1
	s_nop 0
	v_div_fmas_f64 v[0:1], v[0:1], v[2:3], v[8:9]
	v_div_fixup_f64 v[0:1], v[0:1], v[4:5], s[12:13]
	s_mov_b32 s12, 0xcf8c9ee1
	v_add_f64 v[0:1], v[0:1], -2.0
	v_mov_b32_e32 v2, 0x93812603
	v_mov_b32_e32 v3, 0xbc72fecc
	s_mov_b32 s13, 0x3c5871a5
	v_fmac_f64_e32 v[2:3], s[12:13], v[0:1]
	v_mov_b32_e32 v7, 0xbc5871a5
	s_mov_b32 s12, 0x41a8cdf4
	v_fmac_f64_e32 v[6:7], v[0:1], v[2:3]
	s_mov_b32 s13, 0x3c8e092e
	v_add_f64 v[6:7], v[6:7], s[12:13]
	s_mov_b32 s12, 0x74d77641
	v_fma_f64 v[2:3], v[0:1], v[6:7], -v[2:3]
	s_mov_b32 s13, 0xbca82f94
	v_add_f64 v[2:3], v[2:3], s[12:13]
	s_mov_b32 s12, 0x6b94785b
	v_fma_f64 v[6:7], v[0:1], v[2:3], -v[6:7]
	;; [unrolled: 4-line block ×22, first 2 shown]
	s_mov_b32 s13, 0x400385bd
	v_add_f64 v[0:1], v[0:1], s[12:13]
	s_mov_b32 s12, 0x652b82fe
	s_mov_b32 s13, 0xbff71547
	v_mul_f64 v[6:7], v[4:5], s[12:13]
	s_mov_b32 s12, 0xfefa39ef
	v_rndne_f64_e32 v[6:7], v[6:7]
	s_mov_b32 s13, 0xbfe62e42
	v_fma_f64 v[8:9], v[6:7], s[12:13], -v[4:5]
	s_mov_b32 s12, 0x3b39803f
	s_mov_b32 s13, 0xbc7abc9e
	v_fmac_f64_e32 v[8:9], s[12:13], v[6:7]
	s_mov_b32 s12, 0x6a5dcb37
	s_mov_b32 s13, 0x3e5ade15
	v_fmac_f64_e32 v[10:11], s[12:13], v[8:9]
	v_mov_b32_e32 v13, 0x3ec71dee
	v_fmac_f64_e32 v[12:13], v[8:9], v[10:11]
	v_mov_b32_e32 v10, 0x7c89e6b0
	v_mov_b32_e32 v11, 0x3efa0199
	v_fmac_f64_e32 v[10:11], v[8:9], v[12:13]
	v_mov_b32_e32 v12, 0x14761f6e
	;; [unrolled: 3-line block ×7, first 2 shown]
	v_mov_b32_e32 v11, 0x3fe00000
	v_fmac_f64_e32 v[10:11], v[8:9], v[12:13]
	s_mov_b32 s12, 0
	v_fma_f64 v[10:11], v[8:9], v[10:11], 1.0
	s_mov_b32 s13, 0x4090cc00
	v_fma_f64 v[8:9], v[8:9], v[10:11], 1.0
	v_cvt_i32_f64_e32 v6, v[6:7]
	v_cmp_nlt_f64_e32 vcc, s[12:13], v[4:5]
	s_mov_b32 s12, 0
	v_ldexp_f64 v[6:7], v[8:9], v6
	s_brev_b32 s13, 8
	v_cndmask_b32_e32 v7, 0, v7, vcc
	v_cndmask_b32_e32 v6, 0, v6, vcc
	v_cmp_gt_f64_e32 vcc, s[12:13], v[4:5]
	v_cndmask_b32_e64 v8, 0, 1, vcc
	v_lshlrev_b32_e32 v8, 8, v8
	v_ldexp_f64 v[4:5], v[4:5], v8
	v_rsq_f64_e32 v[8:9], v[4:5]
	v_add_f64 v[0:1], v[0:1], -v[2:3]
	v_mul_f64 v[0:1], v[0:1], 0.5
	v_mul_f64 v[0:1], v[6:7], v[0:1]
	v_mul_f64 v[2:3], v[4:5], v[8:9]
	v_mul_f64 v[6:7], v[8:9], 0.5
	v_fma_f64 v[8:9], -v[6:7], v[2:3], 0.5
	v_fmac_f64_e32 v[2:3], v[2:3], v[8:9]
	v_fma_f64 v[10:11], -v[2:3], v[2:3], v[4:5]
	v_fmac_f64_e32 v[6:7], v[6:7], v[8:9]
	v_fmac_f64_e32 v[2:3], v[10:11], v[6:7]
	v_fma_f64 v[8:9], -v[2:3], v[2:3], v[4:5]
	v_fmac_f64_e32 v[2:3], v[8:9], v[6:7]
	v_mov_b32_e32 v6, 0xffffff80
	v_cndmask_b32_e32 v6, 0, v6, vcc
	v_ldexp_f64 v[2:3], v[2:3], v6
	v_mov_b32_e32 v6, 0x260
	v_cmp_class_f64_e32 vcc, v[4:5], v6
	v_cndmask_b32_e32 v3, v3, v5, vcc
	v_cndmask_b32_e32 v2, v2, v4, vcc
	v_div_scale_f64 v[4:5], s[12:13], v[2:3], v[2:3], v[0:1]
	v_rcp_f64_e32 v[6:7], v[4:5]
	v_fma_f64 v[8:9], -v[4:5], v[6:7], 1.0
	v_fmac_f64_e32 v[6:7], v[6:7], v[8:9]
	v_fma_f64 v[8:9], -v[4:5], v[6:7], 1.0
	v_fmac_f64_e32 v[6:7], v[6:7], v[8:9]
	v_div_scale_f64 v[8:9], vcc, v[0:1], v[2:3], v[0:1]
	v_mul_f64 v[10:11], v[8:9], v[6:7]
	v_fma_f64 v[4:5], -v[4:5], v[10:11], v[8:9]
	s_nop 1
	v_div_fmas_f64 v[4:5], v[4:5], v[6:7], v[10:11]
	v_div_fixup_f64 v[0:1], v[4:5], v[2:3], v[0:1]
.LBB10_61:
	s_or_b64 exec, exec, s[10:11]
.LBB10_62:
	s_or_b64 exec, exec, s[8:9]
.LBB10_63:
	s_or_b64 exec, exec, s[6:7]
	s_or_b64 exec, exec, s[4:5]
	s_setpc_b64 s[30:31]
.LBB10_64:
	v_mov_b32_e32 v2, 28
	v_cmp_gt_i16_sdwa s[8:9], v3, v2 src0_sel:BYTE_0 src1_sel:DWORD
	s_mov_b64 s[14:15], 0
                                        ; implicit-def: $vgpr4_vgpr5
	s_and_saveexec_b64 s[16:17], s[8:9]
	s_xor_b64 s[8:9], exec, s[16:17]
	s_cbranch_execz .LBB10_80
; %bb.65:
	v_mov_b32_e32 v2, 43
	v_cmp_gt_i16_sdwa s[12:13], v3, v2 src0_sel:BYTE_0 src1_sel:DWORD
	s_mov_b64 s[16:17], 0
	s_mov_b64 s[18:19], 0
                                        ; implicit-def: $vgpr4_vgpr5
	s_and_saveexec_b64 s[14:15], s[12:13]
	s_xor_b64 s[12:13], exec, s[14:15]
	s_cbranch_execz .LBB10_75
; %bb.66:
	v_mov_b32_e32 v2, 45
	v_cmp_gt_i16_sdwa s[18:19], v3, v2 src0_sel:BYTE_0 src1_sel:DWORD
	s_mov_b64 s[14:15], 0
                                        ; implicit-def: $vgpr4_vgpr5
	s_and_saveexec_b64 s[20:21], s[18:19]
	s_xor_b64 s[18:19], exec, s[20:21]
	s_cbranch_execz .LBB10_70
; %bb.67:
	v_mov_b32_e32 v2, 46
	v_cmp_eq_u16_sdwa s[22:23], v3, v2 src0_sel:BYTE_0 src1_sel:DWORD
	s_mov_b64 s[20:21], -1
                                        ; implicit-def: $vgpr4_vgpr5
	s_and_saveexec_b64 s[16:17], s[22:23]
	s_cbranch_execz .LBB10_69
; %bb.68:
	flat_load_dword v2, v[0:1]
	s_mov_b64 s[14:15], exec
	s_xor_b64 s[20:21], exec, -1
	s_waitcnt vmcnt(0) lgkmcnt(0)
	v_lshlrev_b32_e32 v2, 16, v2
	v_cvt_f64_f32_e32 v[4:5], v2
.LBB10_69:
	s_or_b64 exec, exec, s[16:17]
	s_and_b64 s[16:17], s[14:15], exec
	s_and_b64 s[14:15], s[20:21], exec
                                        ; implicit-def: $vgpr3
.LBB10_70:
	s_andn2_saveexec_b64 s[18:19], s[18:19]
	s_cbranch_execz .LBB10_74
; %bb.71:
	v_mov_b32_e32 v2, 44
	v_cmp_eq_u16_sdwa s[26:27], v3, v2 src0_sel:BYTE_0 src1_sel:DWORD
	s_mov_b64 s[24:25], -1
	s_mov_b64 s[22:23], s[16:17]
                                        ; implicit-def: $vgpr4_vgpr5
	s_and_saveexec_b64 s[20:21], s[26:27]
	s_cbranch_execz .LBB10_73
; %bb.72:
	flat_load_ubyte v4, v[0:1]
	s_movk_i32 s24, 0xff
	v_bfrev_b32_e32 v5, 4
	v_mov_b32_e32 v6, 0x7ff80000
	v_bfrev_b32_e32 v7, 28
	s_or_b64 s[22:23], s[16:17], exec
	s_waitcnt vmcnt(0) lgkmcnt(0)
	v_lshlrev_b32_e32 v2, 23, v4
	v_cvt_f64_f32_e32 v[2:3], v2
	v_cmp_ne_u32_e32 vcc, s24, v4
	v_cndmask_b32_e32 v2, v5, v2, vcc
	v_cndmask_b32_e32 v3, v6, v3, vcc
	v_cmp_ne_u32_e32 vcc, 0, v4
	v_cndmask_b32_e32 v5, v7, v3, vcc
	v_cndmask_b32_e32 v4, 0, v2, vcc
	s_xor_b64 s[24:25], exec, -1
.LBB10_73:
	s_or_b64 exec, exec, s[20:21]
	s_andn2_b64 s[16:17], s[16:17], exec
	s_and_b64 s[20:21], s[22:23], exec
	s_or_b64 s[16:17], s[16:17], s[20:21]
	s_andn2_b64 s[14:15], s[14:15], exec
	s_and_b64 s[20:21], s[24:25], exec
	s_or_b64 s[14:15], s[14:15], s[20:21]
.LBB10_74:
	s_or_b64 exec, exec, s[18:19]
	s_and_b64 s[18:19], s[16:17], exec
	s_and_b64 s[16:17], s[14:15], exec
                                        ; implicit-def: $vgpr3
.LBB10_75:
	s_andn2_saveexec_b64 s[12:13], s[12:13]
	s_cbranch_execz .LBB10_79
; %bb.76:
	v_mov_b32_e32 v2, 29
	v_cmp_eq_u16_sdwa s[24:25], v3, v2 src0_sel:BYTE_0 src1_sel:DWORD
	s_mov_b64 s[14:15], -1
	s_mov_b64 s[20:21], s[18:19]
                                        ; implicit-def: $vgpr4_vgpr5
	s_and_saveexec_b64 s[22:23], s[24:25]
	s_cbranch_execz .LBB10_78
; %bb.77:
	flat_load_dwordx2 v[2:3], v[0:1]
	s_or_b64 s[20:21], s[18:19], exec
	s_xor_b64 s[14:15], exec, -1
	s_waitcnt vmcnt(0) lgkmcnt(0)
	v_cvt_f64_u32_e32 v[4:5], v3
	v_cvt_f64_u32_e32 v[2:3], v2
	v_ldexp_f64 v[4:5], v[4:5], 32
	v_add_f64 v[4:5], v[4:5], v[2:3]
.LBB10_78:
	s_or_b64 exec, exec, s[22:23]
	s_andn2_b64 s[18:19], s[18:19], exec
	s_and_b64 s[20:21], s[20:21], exec
	s_andn2_b64 s[16:17], s[16:17], exec
	s_and_b64 s[14:15], s[14:15], exec
	s_or_b64 s[18:19], s[18:19], s[20:21]
	s_or_b64 s[16:17], s[16:17], s[14:15]
.LBB10_79:
	s_or_b64 exec, exec, s[12:13]
	s_and_b64 s[14:15], s[18:19], exec
	s_and_b64 s[12:13], s[16:17], exec
                                        ; implicit-def: $vgpr3
.LBB10_80:
	s_andn2_saveexec_b64 s[8:9], s[8:9]
	s_cbranch_execz .LBB10_94
; %bb.81:
	v_mov_b32_e32 v2, 26
	v_cmp_gt_i16_sdwa s[16:17], v3, v2 src0_sel:BYTE_0 src1_sel:DWORD
                                        ; implicit-def: $vgpr4_vgpr5
	s_and_saveexec_b64 s[18:19], s[16:17]
	s_xor_b64 s[16:17], exec, s[18:19]
	s_cbranch_execz .LBB10_87
; %bb.82:
	v_mov_b32_e32 v2, 27
	v_cmp_gt_i16_sdwa s[18:19], v3, v2 src0_sel:BYTE_0 src1_sel:DWORD
                                        ; implicit-def: $vgpr4_vgpr5
	s_and_saveexec_b64 s[20:21], s[18:19]
	s_xor_b64 s[18:19], exec, s[20:21]
	s_cbranch_execz .LBB10_84
; %bb.83:
	flat_load_dword v2, v[0:1]
	s_waitcnt vmcnt(0) lgkmcnt(0)
	v_cvt_f64_u32_e32 v[4:5], v2
.LBB10_84:
	s_andn2_saveexec_b64 s[18:19], s[18:19]
	s_cbranch_execz .LBB10_86
; %bb.85:
	flat_load_ushort v2, v[0:1]
	s_waitcnt vmcnt(0) lgkmcnt(0)
	v_cvt_f64_u32_e32 v[4:5], v2
.LBB10_86:
	s_or_b64 exec, exec, s[18:19]
.LBB10_87:
	s_andn2_saveexec_b64 s[16:17], s[16:17]
	s_cbranch_execz .LBB10_93
; %bb.88:
	flat_load_ubyte v2, v[0:1]
	s_movk_i32 s18, 0x7f
                                        ; implicit-def: $sgpr20_sgpr21
	s_waitcnt vmcnt(0) lgkmcnt(0)
	v_cmp_lt_i16_e32 vcc, s18, v2
	s_mov_b64 s[18:19], 0
	s_and_saveexec_b64 s[22:23], vcc
	s_xor_b64 s[22:23], exec, s[22:23]
	s_cbranch_execnz .LBB10_119
; %bb.89:
	s_or_saveexec_b64 s[22:23], s[22:23]
	v_pk_mov_b32 v[4:5], s[20:21], s[20:21] op_sel:[0,1]
	s_xor_b64 exec, exec, s[22:23]
	s_cbranch_execnz .LBB10_122
.LBB10_90:
	s_or_b64 exec, exec, s[22:23]
	s_and_saveexec_b64 s[20:21], s[18:19]
	s_cbranch_execz .LBB10_92
.LBB10_91:
	v_lshlrev_b32_e32 v3, 24, v2
	v_and_b32_e32 v2, 0xffff, v2
	v_and_b32_e32 v4, 7, v2
	v_ffbh_u32_e32 v6, v4
	v_min_u32_e32 v6, 32, v6
	v_subrev_u32_e32 v7, 28, v6
	v_bfe_u32 v5, v2, 3, 4
	v_lshlrev_b32_e32 v2, v7, v2
	v_sub_u32_e32 v6, 29, v6
	v_and_b32_e32 v2, 7, v2
	v_cmp_eq_u32_e32 vcc, 0, v5
	v_cndmask_b32_e32 v5, v5, v6, vcc
	v_cndmask_b32_e32 v2, v4, v2, vcc
	v_mov_b32_e32 v4, 0x3b800000
	v_lshlrev_b32_e32 v2, 20, v2
	v_and_b32_e32 v3, 0x80000000, v3
	v_lshl_add_u32 v4, v5, 23, v4
	v_or3_b32 v2, v3, v4, v2
	v_cvt_f64_f32_e32 v[4:5], v2
.LBB10_92:
	s_or_b64 exec, exec, s[20:21]
.LBB10_93:
	s_or_b64 exec, exec, s[16:17]
	s_or_b64 s[14:15], s[14:15], exec
.LBB10_94:
	s_or_b64 exec, exec, s[8:9]
	s_and_b64 s[8:9], s[14:15], exec
	s_and_b64 s[12:13], s[12:13], exec
                                        ; implicit-def: $vgpr3
	s_andn2_saveexec_b64 s[10:11], s[10:11]
	s_cbranch_execz .LBB10_6
.LBB10_95:
	v_mov_b32_e32 v2, 22
	v_cmp_gt_i16_sdwa s[6:7], v3, v2 src0_sel:BYTE_0 src1_sel:DWORD
	s_mov_b64 s[14:15], s[8:9]
                                        ; implicit-def: $vgpr4_vgpr5
	s_and_saveexec_b64 s[16:17], s[6:7]
	s_xor_b64 s[6:7], exec, s[16:17]
	s_cbranch_execz .LBB10_109
; %bb.96:
	v_mov_b32_e32 v2, 23
	v_cmp_gt_i16_sdwa s[14:15], v3, v2 src0_sel:BYTE_0 src1_sel:DWORD
                                        ; implicit-def: $vgpr4_vgpr5
	s_and_saveexec_b64 s[16:17], s[14:15]
	s_xor_b64 s[14:15], exec, s[16:17]
	s_cbranch_execz .LBB10_106
; %bb.97:
	v_mov_b32_e32 v2, 24
	v_cmp_gt_i16_sdwa s[16:17], v3, v2 src0_sel:BYTE_0 src1_sel:DWORD
                                        ; implicit-def: $vgpr4_vgpr5
	s_and_saveexec_b64 s[18:19], s[16:17]
	s_xor_b64 s[16:17], exec, s[18:19]
	s_cbranch_execz .LBB10_103
; %bb.98:
	flat_load_ubyte v2, v[0:1]
	s_movk_i32 s18, 0x7f
                                        ; implicit-def: $sgpr20_sgpr21
	s_waitcnt vmcnt(0) lgkmcnt(0)
	v_cmp_lt_i16_e32 vcc, s18, v2
	s_mov_b64 s[18:19], 0
	s_and_saveexec_b64 s[22:23], vcc
	s_xor_b64 s[22:23], exec, s[22:23]
	s_cbranch_execnz .LBB10_123
; %bb.99:
	s_or_saveexec_b64 s[22:23], s[22:23]
	v_pk_mov_b32 v[4:5], s[20:21], s[20:21] op_sel:[0,1]
	s_xor_b64 exec, exec, s[22:23]
	s_cbranch_execnz .LBB10_126
.LBB10_100:
	s_or_b64 exec, exec, s[22:23]
	s_and_saveexec_b64 s[20:21], s[18:19]
	s_cbranch_execz .LBB10_102
.LBB10_101:
	v_lshlrev_b32_e32 v3, 24, v2
	v_and_b32_e32 v2, 0xffff, v2
	v_and_b32_e32 v4, 3, v2
	v_ffbh_u32_e32 v6, v4
	v_min_u32_e32 v6, 32, v6
	v_subrev_u32_e32 v7, 29, v6
	v_bfe_u32 v5, v2, 2, 5
	v_lshlrev_b32_e32 v2, v7, v2
	v_sub_u32_e32 v6, 30, v6
	v_and_b32_e32 v2, 3, v2
	v_cmp_eq_u32_e32 vcc, 0, v5
	v_cndmask_b32_e32 v5, v5, v6, vcc
	v_cndmask_b32_e32 v2, v4, v2, vcc
	v_mov_b32_e32 v4, 0x37800000
	v_lshlrev_b32_e32 v2, 21, v2
	v_and_b32_e32 v3, 0x80000000, v3
	v_lshl_add_u32 v4, v5, 23, v4
	v_or3_b32 v2, v3, v4, v2
	v_cvt_f64_f32_e32 v[4:5], v2
.LBB10_102:
	s_or_b64 exec, exec, s[20:21]
.LBB10_103:
	s_andn2_saveexec_b64 s[16:17], s[16:17]
	s_cbranch_execz .LBB10_105
; %bb.104:
	flat_load_ubyte v2, v[0:1]
	s_mov_b32 s18, 0x7f800000
	s_waitcnt vmcnt(0) lgkmcnt(0)
	v_lshlrev_b32_e32 v2, 24, v2
	v_and_b32_e32 v3, 0x7f000000, v2
	v_ffbh_u32_e32 v4, v3
	v_min_u32_e32 v4, 32, v4
	v_sub_u32_e64 v4, v4, 4 clamp
	v_lshlrev_b32_e32 v6, v4, v3
	v_lshlrev_b32_e32 v4, 23, v4
	v_lshrrev_b32_e32 v6, 4, v6
	v_add_u32_e32 v5, 0x1000000, v3
	v_sub_u32_e32 v4, v6, v4
	v_ashrrev_i32_e32 v5, 8, v5
	v_add_u32_e32 v4, 0x3c000000, v4
	v_and_or_b32 v4, v5, s18, v4
	v_cmp_ne_u32_e32 vcc, 0, v3
	v_cndmask_b32_e32 v3, 0, v4, vcc
	s_brev_b32 s18, 1
	v_and_or_b32 v2, v2, s18, v3
	v_cvt_f64_f32_e32 v[4:5], v2
.LBB10_105:
	s_or_b64 exec, exec, s[16:17]
.LBB10_106:
	s_andn2_saveexec_b64 s[14:15], s[14:15]
	s_cbranch_execz .LBB10_108
; %bb.107:
	flat_load_ubyte v2, v[0:1]
	s_movk_i32 s16, 0x7f00
	s_brev_b32 s17, 16
	s_waitcnt vmcnt(0) lgkmcnt(0)
	v_lshlrev_b16_e32 v3, 8, v2
	v_lshlrev_b32_e32 v2, 25, v2
	v_lshrrev_b32_e32 v4, 4, v2
	v_and_or_b32 v5, v3, s16, 0.5
	v_or_b32_e32 v4, 0x70000000, v4
	v_add_f32_e32 v5, -0.5, v5
	v_mul_f32_e32 v4, 0x7800000, v4
	v_cmp_gt_u32_e32 vcc, s17, v2
	v_bfe_i32 v3, v3, 0, 16
	v_cndmask_b32_e32 v2, v4, v5, vcc
	s_brev_b32 s16, 1
	v_and_or_b32 v2, v3, s16, v2
	v_cvt_f64_f32_e32 v[4:5], v2
.LBB10_108:
	s_or_b64 exec, exec, s[14:15]
	s_or_b64 s[14:15], s[8:9], exec
                                        ; implicit-def: $vgpr3
.LBB10_109:
	s_or_saveexec_b64 s[6:7], s[6:7]
	s_mov_b64 s[18:19], 0
	s_mov_b64 s[16:17], s[12:13]
	s_xor_b64 exec, exec, s[6:7]
	s_cbranch_execz .LBB10_117
; %bb.110:
	v_mov_b32_e32 v2, 14
	v_cmp_gt_i16_sdwa s[20:21], v3, v2 src0_sel:BYTE_0 src1_sel:DWORD
	s_mov_b64 s[16:17], s[12:13]
	s_mov_b64 s[18:19], s[14:15]
                                        ; implicit-def: $vgpr4_vgpr5
	s_and_saveexec_b64 s[22:23], s[20:21]
	s_xor_b64 s[20:21], exec, s[22:23]
	s_cbranch_execz .LBB10_114
; %bb.111:
	v_mov_b32_e32 v2, 15
	v_cmp_eq_u16_sdwa s[24:25], v3, v2 src0_sel:BYTE_0 src1_sel:DWORD
	s_mov_b64 s[16:17], -1
	s_mov_b64 s[18:19], s[14:15]
                                        ; implicit-def: $vgpr4_vgpr5
	s_and_saveexec_b64 s[22:23], s[24:25]
	s_cbranch_execz .LBB10_113
; %bb.112:
	flat_load_ushort v2, v[0:1]
	s_or_b64 s[18:19], s[14:15], exec
	s_xor_b64 s[16:17], exec, -1
	s_waitcnt vmcnt(0) lgkmcnt(0)
	v_lshlrev_b32_e32 v2, 16, v2
	v_cvt_f64_f32_e32 v[4:5], v2
.LBB10_113:
	s_or_b64 exec, exec, s[22:23]
	s_andn2_b64 s[22:23], s[14:15], exec
	s_and_b64 s[18:19], s[18:19], exec
	s_or_b64 s[18:19], s[22:23], s[18:19]
	s_andn2_b64 s[22:23], s[12:13], exec
	s_and_b64 s[16:17], s[16:17], exec
	s_or_b64 s[16:17], s[22:23], s[16:17]
                                        ; implicit-def: $vgpr3
.LBB10_114:
	s_or_saveexec_b64 s[20:21], s[20:21]
	s_mov_b64 s[22:23], 0
	s_xor_b64 exec, exec, s[20:21]
; %bb.115:
	v_mov_b32_e32 v2, 11
	v_cmp_ne_u16_sdwa s[24:25], v3, v2 src0_sel:BYTE_0 src1_sel:DWORD
	s_andn2_b64 s[16:17], s[16:17], exec
	s_and_b64 s[24:25], s[24:25], exec
	s_mov_b64 s[22:23], exec
	s_or_b64 s[16:17], s[16:17], s[24:25]
                                        ; implicit-def: $vgpr4_vgpr5
; %bb.116:
	s_or_b64 exec, exec, s[20:21]
	s_andn2_b64 s[14:15], s[14:15], exec
	s_and_b64 s[18:19], s[18:19], exec
	s_andn2_b64 s[20:21], s[12:13], exec
	s_and_b64 s[16:17], s[16:17], exec
	s_or_b64 s[14:15], s[14:15], s[18:19]
	s_and_b64 s[18:19], s[22:23], exec
	s_or_b64 s[16:17], s[20:21], s[16:17]
.LBB10_117:
	s_or_b64 exec, exec, s[6:7]
	s_andn2_b64 s[6:7], s[8:9], exec
	s_and_b64 s[8:9], s[14:15], exec
	s_andn2_b64 s[12:13], s[12:13], exec
	s_and_b64 s[14:15], s[16:17], exec
	s_or_b64 s[8:9], s[6:7], s[8:9]
	s_and_b64 s[6:7], s[18:19], exec
	s_or_b64 s[12:13], s[12:13], s[14:15]
	s_or_b64 exec, exec, s[10:11]
	s_and_saveexec_b64 s[10:11], s[12:13]
	s_cbranch_execz .LBB10_7
.LBB10_118:
	s_trap 2
	; divergent unreachable
	s_andn2_b64 s[6:7], s[6:7], exec
                                        ; implicit-def: $vgpr4_vgpr5
	s_or_b64 exec, exec, s[10:11]
	s_and_saveexec_b64 s[10:11], s[6:7]
	s_xor_b64 s[6:7], exec, s[10:11]
	s_cbranch_execnz .LBB10_8
	s_branch .LBB10_9
.LBB10_119:
	s_movk_i32 s18, 0x80
	v_cmp_eq_u16_e32 vcc, s18, v2
	s_mov_b64 s[24:25], -1
                                        ; implicit-def: $sgpr20_sgpr21
	s_and_saveexec_b64 s[18:19], vcc
; %bb.120:
	s_mov_b32 s21, 0x7ff80000
	s_brev_b32 s20, 4
	s_xor_b64 s[24:25], exec, -1
; %bb.121:
	s_or_b64 exec, exec, s[18:19]
	s_and_b64 s[18:19], s[24:25], exec
	s_or_saveexec_b64 s[22:23], s[22:23]
	v_pk_mov_b32 v[4:5], s[20:21], s[20:21] op_sel:[0,1]
	s_xor_b64 exec, exec, s[22:23]
	s_cbranch_execz .LBB10_90
.LBB10_122:
	v_cmp_ne_u16_e32 vcc, 0, v2
	s_andn2_b64 s[18:19], s[18:19], exec
	s_and_b64 s[20:21], vcc, exec
	v_pk_mov_b32 v[4:5], 0, 0
	s_or_b64 s[18:19], s[18:19], s[20:21]
	s_or_b64 exec, exec, s[22:23]
	s_and_saveexec_b64 s[20:21], s[18:19]
	s_cbranch_execnz .LBB10_91
	s_branch .LBB10_92
.LBB10_123:
	s_movk_i32 s18, 0x80
	v_cmp_eq_u16_e32 vcc, s18, v2
	s_mov_b64 s[24:25], -1
                                        ; implicit-def: $sgpr20_sgpr21
	s_and_saveexec_b64 s[18:19], vcc
; %bb.124:
	s_mov_b32 s21, 0x7ff80000
	s_brev_b32 s20, 4
	s_xor_b64 s[24:25], exec, -1
; %bb.125:
	s_or_b64 exec, exec, s[18:19]
	s_and_b64 s[18:19], s[24:25], exec
	s_or_saveexec_b64 s[22:23], s[22:23]
	v_pk_mov_b32 v[4:5], s[20:21], s[20:21] op_sel:[0,1]
	s_xor_b64 exec, exec, s[22:23]
	s_cbranch_execz .LBB10_100
.LBB10_126:
	v_cmp_ne_u16_e32 vcc, 0, v2
	s_andn2_b64 s[18:19], s[18:19], exec
	s_and_b64 s[20:21], vcc, exec
	v_pk_mov_b32 v[4:5], 0, 0
	s_or_b64 s[18:19], s[18:19], s[20:21]
	s_or_b64 exec, exec, s[22:23]
	s_and_saveexec_b64 s[20:21], s[18:19]
	s_cbranch_execnz .LBB10_101
	s_branch .LBB10_102
.Lfunc_end10:
	.size	_ZN2at6native6invokeIZZZNS0_12_GLOBAL__N_130modified_bessel_k0_kernel_cudaERNS_18TensorIteratorBaseEENKUlvE_clEvENKUlvE_clEvEUldE_j15function_traitsIS7_EEENT1_11result_typeERKT_PrKPcPKT0_PKN3c1010ScalarTypeEi, .Lfunc_end10-_ZN2at6native6invokeIZZZNS0_12_GLOBAL__N_130modified_bessel_k0_kernel_cudaERNS_18TensorIteratorBaseEENKUlvE_clEvENKUlvE_clEvEUldE_j15function_traitsIS7_EEENT1_11result_typeERKT_PrKPcPKT0_PKN3c1010ScalarTypeEi
                                        ; -- End function
	.section	.AMDGPU.csdata,"",@progbits
; Function info:
; codeLenInByte = 7856
; NumSgprs: 36
; NumVgprs: 21
; NumAgprs: 0
; TotalNumVgprs: 21
; ScratchSize: 0
; MemoryBound: 1
	.section	.text._ZN2at6native32elementwise_kernel_manual_unrollILi128ELi4EZNS0_15gpu_kernel_implIZZZNS0_12_GLOBAL__N_130modified_bessel_k0_kernel_cudaERNS_18TensorIteratorBaseEENKUlvE_clEvENKUlvE_clEvEUldE_EEvS5_RKT_EUlibE0_EEviT1_,"axG",@progbits,_ZN2at6native32elementwise_kernel_manual_unrollILi128ELi4EZNS0_15gpu_kernel_implIZZZNS0_12_GLOBAL__N_130modified_bessel_k0_kernel_cudaERNS_18TensorIteratorBaseEENKUlvE_clEvENKUlvE_clEvEUldE_EEvS5_RKT_EUlibE0_EEviT1_,comdat
	.globl	_ZN2at6native32elementwise_kernel_manual_unrollILi128ELi4EZNS0_15gpu_kernel_implIZZZNS0_12_GLOBAL__N_130modified_bessel_k0_kernel_cudaERNS_18TensorIteratorBaseEENKUlvE_clEvENKUlvE_clEvEUldE_EEvS5_RKT_EUlibE0_EEviT1_ ; -- Begin function _ZN2at6native32elementwise_kernel_manual_unrollILi128ELi4EZNS0_15gpu_kernel_implIZZZNS0_12_GLOBAL__N_130modified_bessel_k0_kernel_cudaERNS_18TensorIteratorBaseEENKUlvE_clEvENKUlvE_clEvEUldE_EEvS5_RKT_EUlibE0_EEviT1_
	.p2align	8
	.type	_ZN2at6native32elementwise_kernel_manual_unrollILi128ELi4EZNS0_15gpu_kernel_implIZZZNS0_12_GLOBAL__N_130modified_bessel_k0_kernel_cudaERNS_18TensorIteratorBaseEENKUlvE_clEvENKUlvE_clEvEUldE_EEvS5_RKT_EUlibE0_EEviT1_,@function
_ZN2at6native32elementwise_kernel_manual_unrollILi128ELi4EZNS0_15gpu_kernel_implIZZZNS0_12_GLOBAL__N_130modified_bessel_k0_kernel_cudaERNS_18TensorIteratorBaseEENKUlvE_clEvENKUlvE_clEvEUldE_EEvS5_RKT_EUlibE0_EEviT1_: ; @_ZN2at6native32elementwise_kernel_manual_unrollILi128ELi4EZNS0_15gpu_kernel_implIZZZNS0_12_GLOBAL__N_130modified_bessel_k0_kernel_cudaERNS_18TensorIteratorBaseEENKUlvE_clEvENKUlvE_clEvEUldE_EEvS5_RKT_EUlibE0_EEviT1_
; %bb.0:
	s_load_dword s74, s[4:5], 0x0
	s_load_dword s33, s[4:5], 0x8
	s_add_u32 flat_scratch_lo, s6, s9
	s_addc_u32 flat_scratch_hi, s7, 0
	s_add_u32 s0, s0, s9
	s_mov_b64 s[28:29], s[4:5]
	s_addc_u32 s1, s1, 0
	s_or_b32 s34, s28, 8
	v_lshl_or_b32 v24, s8, 9, v0
	s_waitcnt lgkmcnt(0)
	s_add_i32 s76, s33, -1
	v_or_b32_e32 v6, 0x180, v24
	s_cmp_gt_u32 s76, 1
	s_mov_b32 s35, s5
	v_cmp_le_i32_e32 vcc, s74, v6
	s_cselect_b64 s[50:51], -1, 0
	s_mov_b64 s[48:49], 0
	s_mov_b64 s[40:41], 0
	s_mov_b32 s32, 0
	s_and_saveexec_b64 s[4:5], vcc
	s_xor_b64 s[52:53], exec, s[4:5]
	s_cbranch_execz .LBB11_570
; %bb.1:
	v_mov_b32_e32 v0, 0
	global_load_ushort v25, v0, s[34:35] offset:345
	s_load_dwordx4 s[44:47], s[34:35], 0x4
	s_load_dwordx2 s[54:55], s[34:35], 0x14
	s_load_dwordx4 s[40:43], s[34:35], 0xc4
	s_load_dwordx4 s[36:39], s[34:35], 0x148
	s_cmp_lg_u32 s33, 0
	s_cselect_b64 s[60:61], -1, 0
	s_add_u32 s58, s34, 0xc4
	s_addc_u32 s59, s35, 0
	s_min_u32 s77, s76, 15
	s_cmp_gt_u32 s33, 1
	v_cmp_gt_i32_e32 vcc, s74, v24
	s_mov_b64 s[4:5], -1
	s_mov_b64 s[68:69], 0
	s_cselect_b64 s[56:57], -1, 0
	s_mov_b64 s[62:63], 0
	s_waitcnt vmcnt(0)
	v_lshrrev_b16_e32 v21, 8, v25
	s_and_saveexec_b64 s[64:65], vcc
                                        ; implicit-def: $vgpr2_vgpr3
	s_cbranch_execz .LBB11_139
; %bb.2:
	s_andn2_b64 vcc, exec, s[50:51]
	s_cbranch_vccnz .LBB11_8
; %bb.3:
	s_mov_b32 s24, 0
	s_andn2_b64 vcc, exec, s[60:61]
	v_mov_b32_e32 v2, 0
	v_mov_b32_e32 v22, 0
	s_cbranch_vccnz .LBB11_14
; %bb.4:
	s_add_i32 s62, s77, 1
	s_cmp_eq_u32 s76, 2
	s_cbranch_scc1 .LBB11_9
; %bb.5:
	s_and_b32 s24, s62, 28
	s_mov_b32 s25, 0
	v_mov_b32_e32 v22, 0
	s_mov_b64 s[26:27], s[34:35]
	s_mov_b64 s[30:31], s[58:59]
	v_mov_b32_e32 v0, v24
	v_mov_b32_e32 v2, 0
.LBB11_6:                               ; =>This Inner Loop Header: Depth=1
	s_load_dwordx8 s[12:19], s[26:27], 0x4
	s_load_dwordx4 s[20:23], s[26:27], 0x24
	s_load_dwordx8 s[4:11], s[30:31], 0x0
	s_add_u32 s26, s26, 48
	s_addc_u32 s27, s27, 0
	s_waitcnt lgkmcnt(0)
	v_mul_hi_u32 v1, s13, v0
	v_add_u32_e32 v1, v0, v1
	v_lshrrev_b32_e32 v1, s14, v1
	v_mul_lo_u32 v3, v1, s12
	v_mul_hi_u32 v4, s16, v1
	v_sub_u32_e32 v0, v0, v3
	v_add_u32_e32 v3, v1, v4
	v_lshrrev_b32_e32 v3, s17, v3
	v_mul_lo_u32 v5, v3, s15
	v_mul_hi_u32 v6, s19, v3
	v_sub_u32_e32 v1, v1, v5
	v_add_u32_e32 v5, v3, v6
	v_mul_lo_u32 v4, v0, s5
	v_mul_lo_u32 v0, v0, s4
	;; [unrolled: 1-line block ×4, first 2 shown]
	v_lshrrev_b32_e32 v5, s20, v5
	v_add3_u32 v1, v0, v22, v1
	v_add3_u32 v2, v4, v2, v6
	v_mul_lo_u32 v0, v5, s18
	v_mul_hi_u32 v4, s22, v5
	v_sub_u32_e32 v0, v3, v0
	v_add_u32_e32 v3, v5, v4
	v_mul_lo_u32 v4, v0, s8
	v_mul_lo_u32 v6, v0, s9
	v_lshrrev_b32_e32 v0, s23, v3
	s_add_i32 s25, s25, 4
	v_mul_lo_u32 v3, v0, s21
	s_add_u32 s30, s30, 32
	v_sub_u32_e32 v3, v5, v3
	s_addc_u32 s31, s31, 0
	v_mul_lo_u32 v5, v3, s10
	v_mul_lo_u32 v3, v3, s11
	s_cmp_lg_u32 s24, s25
	v_add3_u32 v2, v6, v2, v3
	v_add3_u32 v22, v4, v1, v5
	s_cbranch_scc1 .LBB11_6
; %bb.7:
	v_mov_b32_e32 v23, v2
	s_branch .LBB11_10
.LBB11_8:
                                        ; implicit-def: $vgpr2
                                        ; implicit-def: $vgpr22
	s_andn2_b64 vcc, exec, s[4:5]
	s_cbranch_vccz .LBB11_15
	s_branch .LBB11_17
.LBB11_9:
	s_mov_b32 s25, s24
	v_pk_mov_b32 v[22:23], s[24:25], s[24:25] op_sel:[0,1]
                                        ; implicit-def: $vgpr2
	v_mov_b32_e32 v0, v24
.LBB11_10:
	s_and_b32 s8, s62, 3
	s_cmp_eq_u32 s8, 0
	s_cbranch_scc1 .LBB11_14
; %bb.11:
	s_lshl_b32 s4, s24, 3
	s_add_u32 s4, s4, s34
	s_addc_u32 s5, s35, 0
	s_add_u32 s4, s4, 0xc4
	s_addc_u32 s5, s5, 0
	s_mul_i32 s6, s24, 12
	s_add_u32 s6, s34, s6
	s_addc_u32 s7, s35, 0
.LBB11_12:                              ; =>This Inner Loop Header: Depth=1
	s_load_dwordx2 s[10:11], s[6:7], 0x4
	s_load_dword s9, s[6:7], 0xc
	s_load_dwordx2 s[12:13], s[4:5], 0x0
	s_add_u32 s6, s6, 12
	s_addc_u32 s7, s7, 0
	s_waitcnt lgkmcnt(0)
	v_mul_hi_u32 v1, s11, v0
	v_add_u32_e32 v1, v0, v1
	v_lshrrev_b32_e32 v1, s9, v1
	v_mul_lo_u32 v3, v1, s10
	v_mov_b32_e32 v2, v23
	s_add_u32 s4, s4, 8
	v_sub_u32_e32 v4, v0, v3
	s_addc_u32 s5, s5, 0
	s_add_i32 s8, s8, -1
	v_mad_u64_u32 v[2:3], s[10:11], v4, s13, v[2:3]
	v_mad_u64_u32 v[22:23], s[10:11], v4, s12, v[22:23]
	s_cmp_lg_u32 s8, 0
	v_mov_b32_e32 v0, v1
	v_mov_b32_e32 v23, v2
	s_cbranch_scc1 .LBB11_12
; %bb.13:
	v_mov_b32_e32 v2, v23
.LBB11_14:
	s_cbranch_execnz .LBB11_17
.LBB11_15:
	s_waitcnt lgkmcnt(0)
	v_mul_hi_u32 v0, s45, v24
	v_add_u32_e32 v0, v24, v0
	v_lshrrev_b32_e32 v0, s46, v0
	v_mul_lo_u32 v1, v0, s44
	v_sub_u32_e32 v1, v24, v1
	v_mul_lo_u32 v2, v1, s41
	s_andn2_b64 vcc, exec, s[56:57]
	v_mul_lo_u32 v22, v1, s40
	s_cbranch_vccnz .LBB11_17
; %bb.16:
	v_mul_hi_u32 v1, s54, v0
	v_add_u32_e32 v1, v0, v1
	v_lshrrev_b32_e32 v1, s55, v1
	v_mul_lo_u32 v1, v1, s47
	v_sub_u32_e32 v0, v0, v1
	v_mad_u64_u32 v[22:23], s[4:5], v0, s42, v[22:23]
	v_mad_u64_u32 v[2:3], s[4:5], v0, s43, v[2:3]
.LBB11_17:
	s_waitcnt lgkmcnt(0)
	v_mov_b32_e32 v0, s38
	v_mov_b32_e32 v1, s39
	;; [unrolled: 1-line block ×3, first 2 shown]
	s_getpc_b64 s[4:5]
	s_add_u32 s4, s4, _ZN2at6native6invokeIZZZNS0_12_GLOBAL__N_130modified_bessel_k0_kernel_cudaERNS_18TensorIteratorBaseEENKUlvE_clEvENKUlvE_clEvEUldE_j15function_traitsIS7_EEENT1_11result_typeERKT_PrKPcPKT0_PKN3c1010ScalarTypeEi@rel32@lo+4
	s_addc_u32 s5, s5, _ZN2at6native6invokeIZZZNS0_12_GLOBAL__N_130modified_bessel_k0_kernel_cudaERNS_18TensorIteratorBaseEENKUlvE_clEvENKUlvE_clEvEUldE_j15function_traitsIS7_EEENT1_11result_typeERKT_PrKPcPKT0_PKN3c1010ScalarTypeEi@rel32@hi+12
	s_swappc_b64 s[30:31], s[4:5]
	v_mov_b32_e32 v2, s37
	v_add_co_u32_e32 v4, vcc, s36, v22
	v_addc_co_u32_e32 v5, vcc, 0, v2, vcc
	v_mov_b32_e32 v2, 11
	v_cmp_lt_i16_sdwa s[4:5], v25, v2 src0_sel:BYTE_0 src1_sel:DWORD
	s_and_b64 vcc, exec, s[4:5]
	s_cbranch_vccnz .LBB11_24
; %bb.18:
	v_mov_b32_e32 v2, 25
	v_cmp_gt_i16_sdwa s[4:5], v25, v2 src0_sel:BYTE_0 src1_sel:DWORD
	s_and_b64 vcc, exec, s[4:5]
	s_cbranch_vccz .LBB11_27
; %bb.19:
	v_mov_b32_e32 v2, 28
	v_cmp_gt_i16_sdwa s[4:5], v25, v2 src0_sel:BYTE_0 src1_sel:DWORD
	s_and_b64 vcc, exec, s[4:5]
	s_cbranch_vccz .LBB11_28
	;; [unrolled: 5-line block ×4, first 2 shown]
; %bb.22:
	v_mov_b32_e32 v2, 46
	v_cmp_eq_u16_sdwa s[6:7], v25, v2 src0_sel:BYTE_0 src1_sel:DWORD
	s_mov_b64 s[8:9], 0
	s_mov_b64 s[4:5], -1
	s_and_b64 vcc, exec, s[6:7]
	s_mov_b64 s[6:7], 0
	s_cbranch_vccz .LBB11_31
; %bb.23:
	v_cvt_f32_f64_e32 v2, v[0:1]
	v_bfe_u32 v3, v2, 16, 1
	s_movk_i32 s4, 0x7fff
	v_add3_u32 v3, v2, v3, s4
	v_lshrrev_b32_e32 v3, 16, v3
	v_mov_b32_e32 v6, 0x7fc0
	v_cmp_o_f32_e32 vcc, v2, v2
	v_cndmask_b32_e32 v2, v6, v3, vcc
	global_store_dword v[4:5], v2, off
	s_mov_b64 s[6:7], -1
	s_mov_b64 s[4:5], 0
	s_branch .LBB11_31
.LBB11_24:
	s_mov_b64 s[4:5], 0
	s_mov_b64 s[6:7], 0
	s_cbranch_execnz .LBB11_99
.LBB11_25:
	s_andn2_b64 vcc, exec, s[6:7]
	s_cbranch_vccnz .LBB11_137
.LBB11_26:
	v_add_u32_e32 v24, 0x80, v24
	s_mov_b64 s[6:7], -1
	s_branch .LBB11_138
.LBB11_27:
	s_mov_b64 s[4:5], 0
	s_mov_b64 s[6:7], 0
	s_cbranch_execnz .LBB11_58
	s_branch .LBB11_98
.LBB11_28:
	s_mov_b64 s[8:9], -1
	s_mov_b64 s[4:5], 0
	s_mov_b64 s[6:7], 0
	s_branch .LBB11_41
.LBB11_29:
	s_mov_b64 s[8:9], -1
	s_mov_b64 s[4:5], 0
	s_mov_b64 s[6:7], 0
	s_branch .LBB11_37
.LBB11_30:
	s_mov_b64 s[8:9], -1
	s_mov_b64 s[4:5], 0
	s_mov_b64 s[6:7], 0
.LBB11_31:
	s_and_b64 vcc, exec, s[8:9]
	s_cbranch_vccz .LBB11_36
; %bb.32:
	v_mov_b32_e32 v2, 44
	v_cmp_eq_u16_sdwa s[8:9], v25, v2 src0_sel:BYTE_0 src1_sel:DWORD
	s_mov_b64 s[4:5], -1
	s_and_b64 vcc, exec, s[8:9]
	s_cbranch_vccz .LBB11_36
; %bb.33:
	v_cvt_f32_f64_e32 v2, v[0:1]
	v_bfe_u32 v3, v2, 23, 8
	s_movk_i32 s4, 0xff
	v_cmp_ne_u32_e32 vcc, s4, v3
	v_mov_b32_e32 v6, 0xff
	s_and_saveexec_b64 s[6:7], vcc
; %bb.34:
	s_mov_b32 s4, 0x3fffff
	v_lshrrev_b32_e32 v6, 23, v2
	v_and_b32_e32 v7, 0x400000, v2
	v_and_or_b32 v2, v2, s4, v3
	v_cmp_ne_u32_e32 vcc, 0, v7
	v_cmp_ne_u32_e64 s[4:5], 0, v2
	s_and_b64 s[4:5], vcc, s[4:5]
	v_cndmask_b32_e64 v2, 0, 1, s[4:5]
	v_add_u32_e32 v6, v6, v2
; %bb.35:
	s_or_b64 exec, exec, s[6:7]
	s_mov_b64 s[6:7], -1
	s_mov_b64 s[4:5], 0
	global_store_byte v[4:5], v6, off
.LBB11_36:
	s_mov_b64 s[8:9], 0
.LBB11_37:
	s_and_b64 vcc, exec, s[8:9]
	s_cbranch_vccz .LBB11_40
; %bb.38:
	v_mov_b32_e32 v2, 29
	v_cmp_eq_u16_sdwa s[8:9], v25, v2 src0_sel:BYTE_0 src1_sel:DWORD
	s_mov_b64 s[4:5], -1
	s_and_b64 vcc, exec, s[8:9]
	s_cbranch_vccz .LBB11_40
; %bb.39:
	v_trunc_f64_e32 v[2:3], v[0:1]
	s_movk_i32 s4, 0xffe0
	v_ldexp_f64 v[6:7], v[2:3], s4
	v_floor_f64_e32 v[6:7], v[6:7]
	v_fmac_f64_e32 v[2:3], 0xc1f00000, v[6:7]
	v_cvt_u32_f64_e32 v9, v[6:7]
	v_cvt_u32_f64_e32 v8, v[2:3]
	global_store_dwordx2 v[4:5], v[8:9], off
	s_mov_b64 s[6:7], -1
	s_mov_b64 s[4:5], 0
.LBB11_40:
	s_mov_b64 s[8:9], 0
.LBB11_41:
	s_and_b64 vcc, exec, s[8:9]
	s_cbranch_vccz .LBB11_57
; %bb.42:
	v_mov_b32_e32 v2, 27
	v_cmp_lt_i16_sdwa s[8:9], v25, v2 src0_sel:BYTE_0 src1_sel:DWORD
	s_mov_b64 s[6:7], -1
	s_and_b64 vcc, exec, s[8:9]
	s_cbranch_vccnz .LBB11_48
; %bb.43:
	v_cmp_gt_i16_sdwa s[8:9], v25, v2 src0_sel:BYTE_0 src1_sel:DWORD
	s_and_b64 vcc, exec, s[8:9]
	s_cbranch_vccz .LBB11_45
; %bb.44:
	v_cvt_u32_f64_e32 v2, v[0:1]
	s_mov_b64 s[6:7], 0
	global_store_dword v[4:5], v2, off
.LBB11_45:
	s_andn2_b64 vcc, exec, s[6:7]
	s_cbranch_vccnz .LBB11_47
; %bb.46:
	v_cvt_u32_f64_e32 v2, v[0:1]
	global_store_short v[4:5], v2, off
.LBB11_47:
	s_mov_b64 s[6:7], 0
.LBB11_48:
	s_andn2_b64 vcc, exec, s[6:7]
	s_cbranch_vccnz .LBB11_56
; %bb.49:
	v_cvt_f32_f64_e32 v2, v[0:1]
	v_and_b32_e32 v3, 0x7fffffff, v2
	s_mov_b32 s6, 0x43800000
	v_cmp_gt_u32_e32 vcc, s6, v3
	v_mov_b32_e32 v6, 0x80
	s_and_saveexec_b64 s[6:7], vcc
	s_cbranch_execz .LBB11_55
; %bb.50:
	s_mov_b32 s8, 0x3bffffff
	v_cmp_lt_u32_e32 vcc, s8, v3
	s_mov_b64 s[8:9], 0
                                        ; implicit-def: $vgpr3
	s_and_saveexec_b64 s[10:11], vcc
	s_xor_b64 s[10:11], exec, s[10:11]
	s_cbranch_execz .LBB11_171
; %bb.51:
	v_bfe_u32 v3, v2, 20, 1
	s_mov_b32 s12, 0x487ffff
	v_add3_u32 v3, v2, v3, s12
	s_mov_b64 s[8:9], exec
	v_lshrrev_b32_e32 v3, 20, v3
	s_or_saveexec_b64 s[10:11], s[10:11]
                                        ; implicit-def: $sgpr12
	s_xor_b64 exec, exec, s[10:11]
	s_cbranch_execnz .LBB11_172
.LBB11_52:
	s_or_b64 exec, exec, s[10:11]
	v_mov_b32_e32 v6, s12
	s_and_saveexec_b64 s[10:11], s[8:9]
.LBB11_53:
	v_lshrrev_b32_e32 v2, 24, v2
	s_movk_i32 s8, 0x80
	v_and_or_b32 v6, v2, s8, v3
.LBB11_54:
	s_or_b64 exec, exec, s[10:11]
.LBB11_55:
	s_or_b64 exec, exec, s[6:7]
	global_store_byte v[4:5], v6, off
.LBB11_56:
	s_mov_b64 s[6:7], -1
.LBB11_57:
	s_branch .LBB11_98
.LBB11_58:
	v_mov_b32_e32 v2, 22
	v_cmp_gt_i16_sdwa s[10:11], v25, v2 src0_sel:BYTE_0 src1_sel:DWORD
	s_mov_b64 s[8:9], -1
	s_and_b64 vcc, exec, s[10:11]
	s_cbranch_vccz .LBB11_90
; %bb.59:
	v_mov_b32_e32 v2, 24
	v_cmp_lt_i16_sdwa s[8:9], v25, v2 src0_sel:BYTE_0 src1_sel:DWORD
	s_mov_b64 s[6:7], -1
	s_and_b64 vcc, exec, s[8:9]
	s_cbranch_vccnz .LBB11_79
; %bb.60:
	v_cmp_gt_i16_sdwa s[8:9], v25, v2 src0_sel:BYTE_0 src1_sel:DWORD
	s_and_b64 vcc, exec, s[8:9]
	s_cbranch_vccz .LBB11_68
; %bb.61:
	v_cvt_f32_f64_e32 v2, v[0:1]
	v_and_b32_e32 v3, 0x7fffffff, v2
	s_mov_b32 s6, 0x47800000
	v_cmp_gt_u32_e32 vcc, s6, v3
	v_mov_b32_e32 v6, 0x80
	s_and_saveexec_b64 s[6:7], vcc
	s_cbranch_execz .LBB11_67
; %bb.62:
	s_mov_b32 s8, 0x37ffffff
	v_cmp_lt_u32_e32 vcc, s8, v3
	s_mov_b64 s[8:9], 0
                                        ; implicit-def: $vgpr3
	s_and_saveexec_b64 s[10:11], vcc
	s_xor_b64 s[10:11], exec, s[10:11]
	s_cbranch_execz .LBB11_174
; %bb.63:
	v_bfe_u32 v3, v2, 21, 1
	s_mov_b32 s12, 0x88fffff
	v_add3_u32 v3, v2, v3, s12
	s_mov_b64 s[8:9], exec
	v_lshrrev_b32_e32 v3, 21, v3
	s_or_saveexec_b64 s[10:11], s[10:11]
                                        ; implicit-def: $sgpr12
	s_xor_b64 exec, exec, s[10:11]
	s_cbranch_execnz .LBB11_175
.LBB11_64:
	s_or_b64 exec, exec, s[10:11]
	v_mov_b32_e32 v6, s12
	s_and_saveexec_b64 s[10:11], s[8:9]
.LBB11_65:
	v_lshrrev_b32_e32 v2, 24, v2
	s_movk_i32 s8, 0x80
	v_and_or_b32 v6, v2, s8, v3
.LBB11_66:
	s_or_b64 exec, exec, s[10:11]
.LBB11_67:
	s_or_b64 exec, exec, s[6:7]
	s_mov_b64 s[6:7], 0
	global_store_byte v[4:5], v6, off
.LBB11_68:
	s_and_b64 vcc, exec, s[6:7]
	s_cbranch_vccz .LBB11_78
; %bb.69:
	v_cvt_f32_f64_e32 v2, v[0:1]
	v_and_b32_e32 v6, 0x7fffffff, v2
	s_mov_b32 s6, 0x43f00000
	v_cmp_gt_u32_e32 vcc, s6, v6
                                        ; implicit-def: $vgpr3
	s_and_saveexec_b64 s[6:7], vcc
	s_xor_b64 s[6:7], exec, s[6:7]
	s_cbranch_execz .LBB11_75
; %bb.70:
	s_mov_b32 s8, 0x3c7fffff
	v_cmp_lt_u32_e32 vcc, s8, v6
                                        ; implicit-def: $vgpr3
	s_and_saveexec_b64 s[8:9], vcc
	s_xor_b64 s[8:9], exec, s[8:9]
; %bb.71:
	v_bfe_u32 v3, v2, 20, 1
	s_mov_b32 s10, 0x407ffff
	v_add3_u32 v3, v2, v3, s10
	v_lshrrev_b32_e32 v6, 20, v3
	v_and_b32_e32 v3, 0xff00000, v3
	s_mov_b32 s10, 0x7f00000
	v_mov_b32_e32 v7, 0x7e
	v_cmp_ne_u32_e32 vcc, s10, v3
	v_cndmask_b32_e32 v3, v7, v6, vcc
; %bb.72:
	s_andn2_saveexec_b64 s[8:9], s[8:9]
; %bb.73:
	s_mov_b32 s10, 0x46800000
	v_add_f32_e64 v3, |v2|, s10
; %bb.74:
	s_or_b64 exec, exec, s[8:9]
                                        ; implicit-def: $vgpr6
.LBB11_75:
	s_andn2_saveexec_b64 s[6:7], s[6:7]
; %bb.76:
	s_mov_b32 s8, 0x7f800000
	v_mov_b32_e32 v3, 0x7e
	v_mov_b32_e32 v7, 0x7f
	v_cmp_lt_u32_e32 vcc, s8, v6
	v_cndmask_b32_e32 v3, v3, v7, vcc
; %bb.77:
	s_or_b64 exec, exec, s[6:7]
	v_lshrrev_b32_e32 v2, 24, v2
	s_movk_i32 s6, 0x80
	v_and_or_b32 v2, v2, s6, v3
	global_store_byte v[4:5], v2, off
.LBB11_78:
	s_mov_b64 s[6:7], 0
.LBB11_79:
	s_andn2_b64 vcc, exec, s[6:7]
	s_cbranch_vccnz .LBB11_89
; %bb.80:
	v_cvt_f32_f64_e32 v2, v[0:1]
	v_and_b32_e32 v6, 0x7fffffff, v2
	s_mov_b32 s6, 0x47800000
	v_cmp_gt_u32_e32 vcc, s6, v6
                                        ; implicit-def: $vgpr3
	s_and_saveexec_b64 s[6:7], vcc
	s_xor_b64 s[6:7], exec, s[6:7]
	s_cbranch_execz .LBB11_86
; %bb.81:
	s_mov_b32 s8, 0x387fffff
	v_cmp_lt_u32_e32 vcc, s8, v6
                                        ; implicit-def: $vgpr3
	s_and_saveexec_b64 s[8:9], vcc
	s_xor_b64 s[8:9], exec, s[8:9]
; %bb.82:
	v_bfe_u32 v3, v2, 21, 1
	s_mov_b32 s10, 0x80fffff
	v_add3_u32 v3, v2, v3, s10
	v_lshrrev_b32_e32 v3, 21, v3
; %bb.83:
	s_andn2_saveexec_b64 s[8:9], s[8:9]
; %bb.84:
	s_mov_b32 s10, 0x43000000
	v_add_f32_e64 v3, |v2|, s10
; %bb.85:
	s_or_b64 exec, exec, s[8:9]
                                        ; implicit-def: $vgpr6
.LBB11_86:
	s_andn2_saveexec_b64 s[6:7], s[6:7]
; %bb.87:
	s_mov_b32 s8, 0x7f800000
	v_mov_b32_e32 v3, 0x7c
	v_mov_b32_e32 v7, 0x7f
	v_cmp_lt_u32_e32 vcc, s8, v6
	v_cndmask_b32_e32 v3, v3, v7, vcc
; %bb.88:
	s_or_b64 exec, exec, s[6:7]
	v_lshrrev_b32_e32 v2, 24, v2
	s_movk_i32 s6, 0x80
	v_and_or_b32 v2, v2, s6, v3
	global_store_byte v[4:5], v2, off
.LBB11_89:
	s_mov_b64 s[8:9], 0
	s_mov_b64 s[6:7], -1
.LBB11_90:
	s_andn2_b64 vcc, exec, s[8:9]
	s_cbranch_vccnz .LBB11_98
; %bb.91:
	v_mov_b32_e32 v2, 14
	v_cmp_gt_i16_sdwa s[10:11], v25, v2 src0_sel:BYTE_0 src1_sel:DWORD
	s_mov_b64 s[8:9], -1
	s_and_b64 vcc, exec, s[10:11]
	s_cbranch_vccz .LBB11_95
; %bb.92:
	v_mov_b32_e32 v2, 15
	v_cmp_eq_u16_sdwa s[8:9], v25, v2 src0_sel:BYTE_0 src1_sel:DWORD
	s_mov_b64 s[4:5], -1
	s_and_b64 vcc, exec, s[8:9]
	s_cbranch_vccz .LBB11_94
; %bb.93:
	v_cvt_f32_f64_e32 v2, v[0:1]
	v_bfe_u32 v3, v2, 16, 1
	s_movk_i32 s4, 0x7fff
	v_add3_u32 v3, v2, v3, s4
	v_lshrrev_b32_e32 v3, 16, v3
	v_mov_b32_e32 v6, 0x7fc0
	v_cmp_o_f32_e32 vcc, v2, v2
	v_cndmask_b32_e32 v2, v6, v3, vcc
	global_store_short v[4:5], v2, off
	s_mov_b64 s[6:7], -1
	s_mov_b64 s[4:5], 0
.LBB11_94:
	s_mov_b64 s[8:9], 0
.LBB11_95:
	s_and_b64 vcc, exec, s[8:9]
	s_cbranch_vccz .LBB11_98
; %bb.96:
	v_mov_b32_e32 v2, 11
	v_cmp_eq_u16_sdwa s[8:9], v25, v2 src0_sel:BYTE_0 src1_sel:DWORD
	s_mov_b64 s[4:5], -1
	s_and_b64 vcc, exec, s[8:9]
	s_cbranch_vccz .LBB11_98
; %bb.97:
	v_cmp_neq_f64_e32 vcc, 0, v[0:1]
	s_mov_b64 s[4:5], 0
	v_cndmask_b32_e64 v2, 0, 1, vcc
	s_mov_b64 s[6:7], -1
	global_store_byte v[4:5], v2, off
.LBB11_98:
	s_branch .LBB11_25
.LBB11_99:
	v_mov_b32_e32 v2, 5
	v_cmp_lt_i16_sdwa s[8:9], v25, v2 src0_sel:BYTE_0 src1_sel:DWORD
	s_mov_b64 s[6:7], -1
	s_and_b64 vcc, exec, s[8:9]
	s_cbranch_vccnz .LBB11_120
; %bb.100:
	v_mov_b32_e32 v2, 8
	v_cmp_lt_i16_sdwa s[8:9], v25, v2 src0_sel:BYTE_0 src1_sel:DWORD
	s_and_b64 vcc, exec, s[8:9]
	s_cbranch_vccnz .LBB11_110
; %bb.101:
	v_mov_b32_e32 v2, 9
	v_cmp_lt_i16_sdwa s[8:9], v25, v2 src0_sel:BYTE_0 src1_sel:DWORD
	s_and_b64 vcc, exec, s[8:9]
	s_cbranch_vccnz .LBB11_107
; %bb.102:
	v_cmp_gt_i16_sdwa s[8:9], v25, v2 src0_sel:BYTE_0 src1_sel:DWORD
	s_and_b64 vcc, exec, s[8:9]
	s_cbranch_vccz .LBB11_104
; %bb.103:
	v_mov_b32_e32 v2, 0
	v_mov_b32_e32 v3, v2
	global_store_dwordx4 v[4:5], v[0:3], off
	s_mov_b64 s[6:7], 0
.LBB11_104:
	s_andn2_b64 vcc, exec, s[6:7]
	s_cbranch_vccnz .LBB11_106
; %bb.105:
	v_cvt_f32_f64_e32 v2, v[0:1]
	v_mov_b32_e32 v3, 0
	global_store_dwordx2 v[4:5], v[2:3], off
.LBB11_106:
	s_mov_b64 s[6:7], 0
.LBB11_107:
	s_andn2_b64 vcc, exec, s[6:7]
	s_cbranch_vccnz .LBB11_109
; %bb.108:
	v_cvt_f32_f64_e32 v2, v[0:1]
	v_cvt_f16_f32_e32 v2, v2
	global_store_dword v[4:5], v2, off
.LBB11_109:
	s_mov_b64 s[6:7], 0
.LBB11_110:
	s_andn2_b64 vcc, exec, s[6:7]
	s_cbranch_vccnz .LBB11_119
; %bb.111:
	v_mov_b32_e32 v2, 6
	v_cmp_lt_i16_sdwa s[8:9], v25, v2 src0_sel:BYTE_0 src1_sel:DWORD
	s_mov_b64 s[6:7], -1
	s_and_b64 vcc, exec, s[8:9]
	s_cbranch_vccnz .LBB11_117
; %bb.112:
	v_cmp_gt_i16_sdwa s[8:9], v25, v2 src0_sel:BYTE_0 src1_sel:DWORD
	s_and_b64 vcc, exec, s[8:9]
	s_cbranch_vccz .LBB11_114
; %bb.113:
	global_store_dwordx2 v[4:5], v[0:1], off
	s_mov_b64 s[6:7], 0
.LBB11_114:
	s_andn2_b64 vcc, exec, s[6:7]
	s_cbranch_vccnz .LBB11_116
; %bb.115:
	v_cvt_f32_f64_e32 v2, v[0:1]
	global_store_dword v[4:5], v2, off
.LBB11_116:
	s_mov_b64 s[6:7], 0
.LBB11_117:
	s_andn2_b64 vcc, exec, s[6:7]
	s_cbranch_vccnz .LBB11_119
; %bb.118:
	v_cvt_f32_f64_e32 v2, v[0:1]
	v_cvt_f16_f32_e32 v2, v2
	global_store_short v[4:5], v2, off
.LBB11_119:
	s_mov_b64 s[6:7], 0
.LBB11_120:
	s_andn2_b64 vcc, exec, s[6:7]
	s_cbranch_vccnz .LBB11_136
; %bb.121:
	v_mov_b32_e32 v2, 2
	v_cmp_lt_i16_sdwa s[8:9], v25, v2 src0_sel:BYTE_0 src1_sel:DWORD
	s_mov_b64 s[6:7], -1
	s_and_b64 vcc, exec, s[8:9]
	s_cbranch_vccnz .LBB11_131
; %bb.122:
	v_mov_b32_e32 v2, 3
	v_cmp_lt_i16_sdwa s[8:9], v25, v2 src0_sel:BYTE_0 src1_sel:DWORD
	s_and_b64 vcc, exec, s[8:9]
	s_cbranch_vccnz .LBB11_128
; %bb.123:
	v_cmp_gt_i16_sdwa s[8:9], v25, v2 src0_sel:BYTE_0 src1_sel:DWORD
	s_and_b64 vcc, exec, s[8:9]
	s_cbranch_vccz .LBB11_125
; %bb.124:
	v_trunc_f64_e32 v[2:3], v[0:1]
	s_movk_i32 s6, 0xffe0
	v_ldexp_f64 v[6:7], v[2:3], s6
	v_floor_f64_e32 v[6:7], v[6:7]
	v_fmac_f64_e32 v[2:3], 0xc1f00000, v[6:7]
	v_cvt_i32_f64_e32 v9, v[6:7]
	v_cvt_u32_f64_e32 v8, v[2:3]
	global_store_dwordx2 v[4:5], v[8:9], off
	s_mov_b64 s[6:7], 0
.LBB11_125:
	s_andn2_b64 vcc, exec, s[6:7]
	s_cbranch_vccnz .LBB11_127
; %bb.126:
	v_cvt_i32_f64_e32 v2, v[0:1]
	global_store_dword v[4:5], v2, off
.LBB11_127:
	s_mov_b64 s[6:7], 0
.LBB11_128:
	s_andn2_b64 vcc, exec, s[6:7]
	s_cbranch_vccnz .LBB11_130
; %bb.129:
	v_cvt_i32_f64_e32 v2, v[0:1]
	global_store_short v[4:5], v2, off
.LBB11_130:
	s_mov_b64 s[6:7], 0
.LBB11_131:
	s_andn2_b64 vcc, exec, s[6:7]
	s_cbranch_vccnz .LBB11_136
; %bb.132:
	v_mov_b32_e32 v2, 0
	v_cmp_gt_i16_sdwa s[8:9], v25, v2 src0_sel:BYTE_0 src1_sel:DWORD
	s_mov_b64 s[6:7], -1
	s_and_b64 vcc, exec, s[8:9]
	s_cbranch_vccz .LBB11_134
; %bb.133:
	v_cvt_i32_f64_e32 v2, v[0:1]
	global_store_byte v[4:5], v2, off
	s_mov_b64 s[6:7], 0
.LBB11_134:
	s_andn2_b64 vcc, exec, s[6:7]
	s_cbranch_vccnz .LBB11_136
; %bb.135:
	v_trunc_f64_e32 v[0:1], v[0:1]
	s_movk_i32 s6, 0xffe0
	v_ldexp_f64 v[2:3], v[0:1], s6
	v_floor_f64_e32 v[2:3], v[2:3]
	v_fmac_f64_e32 v[0:1], 0xc1f00000, v[2:3]
	v_cvt_u32_f64_e32 v0, v[0:1]
	global_store_byte v[4:5], v0, off
.LBB11_136:
	s_branch .LBB11_26
.LBB11_137:
	s_mov_b64 s[6:7], 0
                                        ; implicit-def: $vgpr24
.LBB11_138:
	s_and_b64 s[62:63], s[4:5], exec
	s_orn2_b64 s[4:5], s[6:7], exec
.LBB11_139:
	s_or_b64 exec, exec, s[64:65]
	s_mov_b64 s[6:7], 0
                                        ; implicit-def: $vgpr6
                                        ; implicit-def: $vgpr4_vgpr5
                                        ; implicit-def: $vgpr0_vgpr1
	s_and_saveexec_b64 s[64:65], s[4:5]
	s_cbranch_execz .LBB11_147
; %bb.140:
	v_cmp_gt_i32_e32 vcc, s74, v24
	s_mov_b64 s[8:9], -1
	s_mov_b64 s[66:67], s[62:63]
	s_and_saveexec_b64 s[68:69], vcc
	s_cbranch_execz .LBB11_286
; %bb.141:
	s_andn2_b64 vcc, exec, s[50:51]
	s_cbranch_vccnz .LBB11_150
; %bb.142:
	s_mov_b32 s24, 0
	s_andn2_b64 vcc, exec, s[60:61]
	v_mov_b32_e32 v2, 0
	v_mov_b32_e32 v22, 0
	s_cbranch_vccnz .LBB11_156
; %bb.143:
	s_add_i32 s66, s77, 1
	s_cmp_eq_u32 s76, 2
	s_cbranch_scc1 .LBB11_151
; %bb.144:
	s_and_b32 s24, s66, 28
	s_mov_b32 s25, 0
	v_mov_b32_e32 v22, 0
	s_mov_b64 s[26:27], s[34:35]
	s_mov_b64 s[30:31], s[58:59]
	v_mov_b32_e32 v0, v24
	v_mov_b32_e32 v2, 0
.LBB11_145:                             ; =>This Inner Loop Header: Depth=1
	s_load_dwordx8 s[12:19], s[26:27], 0x4
	s_load_dwordx4 s[20:23], s[26:27], 0x24
	s_load_dwordx8 s[4:11], s[30:31], 0x0
	s_add_u32 s26, s26, 48
	s_addc_u32 s27, s27, 0
	s_waitcnt lgkmcnt(0)
	v_mul_hi_u32 v1, s13, v0
	v_add_u32_e32 v1, v0, v1
	v_lshrrev_b32_e32 v1, s14, v1
	v_mul_lo_u32 v3, v1, s12
	v_mul_hi_u32 v4, s16, v1
	v_sub_u32_e32 v0, v0, v3
	v_add_u32_e32 v3, v1, v4
	v_lshrrev_b32_e32 v3, s17, v3
	v_mul_lo_u32 v5, v3, s15
	v_mul_hi_u32 v6, s19, v3
	v_sub_u32_e32 v1, v1, v5
	v_add_u32_e32 v5, v3, v6
	v_mul_lo_u32 v4, v0, s5
	v_mul_lo_u32 v0, v0, s4
	;; [unrolled: 1-line block ×4, first 2 shown]
	v_lshrrev_b32_e32 v5, s20, v5
	v_add3_u32 v1, v0, v22, v1
	v_add3_u32 v2, v4, v2, v6
	v_mul_lo_u32 v0, v5, s18
	v_mul_hi_u32 v4, s22, v5
	v_sub_u32_e32 v0, v3, v0
	v_add_u32_e32 v3, v5, v4
	v_mul_lo_u32 v4, v0, s8
	v_mul_lo_u32 v6, v0, s9
	v_lshrrev_b32_e32 v0, s23, v3
	s_add_i32 s25, s25, 4
	v_mul_lo_u32 v3, v0, s21
	s_add_u32 s30, s30, 32
	v_sub_u32_e32 v3, v5, v3
	s_addc_u32 s31, s31, 0
	v_mul_lo_u32 v5, v3, s10
	v_mul_lo_u32 v3, v3, s11
	s_cmp_eq_u32 s24, s25
	v_add3_u32 v2, v6, v2, v3
	v_add3_u32 v22, v4, v1, v5
	s_cbranch_scc0 .LBB11_145
; %bb.146:
	v_mov_b32_e32 v23, v2
	s_branch .LBB11_152
.LBB11_147:
	s_or_b64 exec, exec, s[64:65]
	s_mov_b64 s[4:5], 0
	s_and_saveexec_b64 s[8:9], s[62:63]
	s_cbranch_execnz .LBB11_530
.LBB11_148:
	s_or_b64 exec, exec, s[8:9]
	s_and_saveexec_b64 s[8:9], s[68:69]
	s_xor_b64 s[8:9], exec, s[8:9]
	s_cbranch_execz .LBB11_531
.LBB11_149:
	v_cmp_neq_f64_e32 vcc, 0, v[0:1]
	v_cndmask_b32_e64 v2, 0, 1, vcc
	global_store_byte v[4:5], v2, off
	s_or_b64 exec, exec, s[8:9]
	s_and_saveexec_b64 s[8:9], s[6:7]
	s_xor_b64 s[6:7], exec, s[8:9]
	s_cbranch_execz .LBB11_569
	s_branch .LBB11_532
.LBB11_150:
                                        ; implicit-def: $vgpr2
                                        ; implicit-def: $vgpr22
	s_branch .LBB11_157
.LBB11_151:
	s_mov_b32 s25, s24
	v_pk_mov_b32 v[22:23], s[24:25], s[24:25] op_sel:[0,1]
                                        ; implicit-def: $vgpr2
	v_mov_b32_e32 v0, v24
.LBB11_152:
	s_and_b32 s8, s66, 3
	s_cmp_eq_u32 s8, 0
	s_cbranch_scc1 .LBB11_156
; %bb.153:
	s_lshl_b32 s4, s24, 3
	s_add_u32 s4, s4, s34
	s_addc_u32 s5, s35, 0
	s_add_u32 s4, s4, 0xc4
	s_addc_u32 s5, s5, 0
	s_mul_i32 s6, s24, 12
	s_add_u32 s6, s34, s6
	s_addc_u32 s7, s35, 0
.LBB11_154:                             ; =>This Inner Loop Header: Depth=1
	s_load_dwordx2 s[10:11], s[6:7], 0x4
	s_load_dword s9, s[6:7], 0xc
	s_load_dwordx2 s[12:13], s[4:5], 0x0
	s_add_u32 s6, s6, 12
	s_addc_u32 s7, s7, 0
	s_waitcnt lgkmcnt(0)
	v_mul_hi_u32 v1, s11, v0
	v_add_u32_e32 v1, v0, v1
	v_lshrrev_b32_e32 v1, s9, v1
	v_mul_lo_u32 v3, v1, s10
	v_mov_b32_e32 v2, v23
	s_add_u32 s4, s4, 8
	v_sub_u32_e32 v4, v0, v3
	s_addc_u32 s5, s5, 0
	s_add_i32 s8, s8, -1
	v_mad_u64_u32 v[2:3], s[10:11], v4, s13, v[2:3]
	v_mad_u64_u32 v[22:23], s[10:11], v4, s12, v[22:23]
	s_cmp_lg_u32 s8, 0
	v_mov_b32_e32 v0, v1
	v_mov_b32_e32 v23, v2
	s_cbranch_scc1 .LBB11_154
; %bb.155:
	v_mov_b32_e32 v2, v23
.LBB11_156:
	s_cbranch_execnz .LBB11_159
.LBB11_157:
	s_waitcnt lgkmcnt(0)
	v_mul_hi_u32 v0, s45, v24
	v_add_u32_e32 v0, v24, v0
	v_lshrrev_b32_e32 v0, s46, v0
	v_mul_lo_u32 v1, v0, s44
	v_sub_u32_e32 v1, v24, v1
	v_mul_lo_u32 v2, v1, s41
	s_andn2_b64 vcc, exec, s[56:57]
	v_mul_lo_u32 v22, v1, s40
	s_cbranch_vccnz .LBB11_159
; %bb.158:
	v_mul_hi_u32 v1, s54, v0
	v_add_u32_e32 v1, v0, v1
	v_lshrrev_b32_e32 v1, s55, v1
	v_mul_lo_u32 v1, v1, s47
	v_sub_u32_e32 v0, v0, v1
	v_mad_u64_u32 v[22:23], s[4:5], v0, s42, v[22:23]
	v_mad_u64_u32 v[2:3], s[4:5], v0, s43, v[2:3]
.LBB11_159:
	s_waitcnt lgkmcnt(0)
	v_mov_b32_e32 v0, s38
	v_mov_b32_e32 v1, s39
	;; [unrolled: 1-line block ×3, first 2 shown]
	s_getpc_b64 s[4:5]
	s_add_u32 s4, s4, _ZN2at6native6invokeIZZZNS0_12_GLOBAL__N_130modified_bessel_k0_kernel_cudaERNS_18TensorIteratorBaseEENKUlvE_clEvENKUlvE_clEvEUldE_j15function_traitsIS7_EEENT1_11result_typeERKT_PrKPcPKT0_PKN3c1010ScalarTypeEi@rel32@lo+4
	s_addc_u32 s5, s5, _ZN2at6native6invokeIZZZNS0_12_GLOBAL__N_130modified_bessel_k0_kernel_cudaERNS_18TensorIteratorBaseEENKUlvE_clEvENKUlvE_clEvEUldE_j15function_traitsIS7_EEENT1_11result_typeERKT_PrKPcPKT0_PKN3c1010ScalarTypeEi@rel32@hi+12
	s_swappc_b64 s[30:31], s[4:5]
	v_mov_b32_e32 v2, s37
	v_add_co_u32_e32 v4, vcc, s36, v22
	v_addc_co_u32_e32 v5, vcc, 0, v2, vcc
	v_mov_b32_e32 v2, 11
	v_cmp_lt_i16_sdwa s[4:5], v25, v2 src0_sel:BYTE_0 src1_sel:DWORD
	s_and_b64 vcc, exec, s[4:5]
	s_cbranch_vccnz .LBB11_166
; %bb.160:
	v_mov_b32_e32 v2, 25
	v_cmp_gt_i16_sdwa s[4:5], v25, v2 src0_sel:BYTE_0 src1_sel:DWORD
	s_and_b64 vcc, exec, s[4:5]
	s_cbranch_vccz .LBB11_169
; %bb.161:
	v_mov_b32_e32 v2, 28
	v_cmp_gt_i16_sdwa s[4:5], v25, v2 src0_sel:BYTE_0 src1_sel:DWORD
	s_and_b64 vcc, exec, s[4:5]
	s_cbranch_vccz .LBB11_170
	;; [unrolled: 5-line block ×4, first 2 shown]
; %bb.164:
	v_mov_b32_e32 v2, 46
	v_cmp_eq_u16_sdwa s[6:7], v25, v2 src0_sel:BYTE_0 src1_sel:DWORD
	s_mov_b64 s[8:9], 0
	s_mov_b64 s[4:5], -1
	s_and_b64 vcc, exec, s[6:7]
	s_mov_b64 s[6:7], 0
	s_cbranch_vccz .LBB11_177
; %bb.165:
	v_cvt_f32_f64_e32 v2, v[0:1]
	v_bfe_u32 v3, v2, 16, 1
	s_movk_i32 s4, 0x7fff
	v_add3_u32 v3, v2, v3, s4
	v_lshrrev_b32_e32 v3, 16, v3
	v_mov_b32_e32 v6, 0x7fc0
	v_cmp_o_f32_e32 vcc, v2, v2
	v_cndmask_b32_e32 v2, v6, v3, vcc
	global_store_dword v[4:5], v2, off
	s_mov_b64 s[6:7], -1
	s_mov_b64 s[4:5], 0
	s_branch .LBB11_177
.LBB11_166:
	s_mov_b64 s[6:7], 0
	s_mov_b64 s[4:5], s[62:63]
	s_cbranch_execnz .LBB11_246
.LBB11_167:
	s_andn2_b64 vcc, exec, s[6:7]
	s_cbranch_vccnz .LBB11_284
.LBB11_168:
	v_add_u32_e32 v24, 0x80, v24
	s_mov_b64 s[6:7], -1
	s_branch .LBB11_285
.LBB11_169:
	s_mov_b64 s[8:9], -1
	s_mov_b64 s[6:7], 0
	s_mov_b64 s[4:5], s[62:63]
	s_branch .LBB11_204
.LBB11_170:
	s_mov_b64 s[8:9], -1
	s_mov_b64 s[6:7], 0
	s_mov_b64 s[4:5], s[62:63]
	s_branch .LBB11_187
.LBB11_171:
	s_or_saveexec_b64 s[10:11], s[10:11]
                                        ; implicit-def: $sgpr12
	s_xor_b64 exec, exec, s[10:11]
	s_cbranch_execz .LBB11_52
.LBB11_172:
	s_mov_b32 s12, 0x46000000
	v_add_f32_e64 v3, |v2|, s12
	v_and_b32_e32 v3, 0xff, v3
	v_cmp_ne_u32_e32 vcc, 0, v3
	s_andn2_b64 s[8:9], s[8:9], exec
	s_and_b64 s[14:15], vcc, exec
	s_mov_b32 s12, 0
	s_or_b64 s[8:9], s[8:9], s[14:15]
	s_or_b64 exec, exec, s[10:11]
	v_mov_b32_e32 v6, s12
	s_and_saveexec_b64 s[10:11], s[8:9]
	s_cbranch_execnz .LBB11_53
	s_branch .LBB11_54
.LBB11_173:
	s_mov_b64 s[8:9], -1
	s_mov_b64 s[6:7], 0
	s_mov_b64 s[4:5], s[62:63]
	s_branch .LBB11_183
.LBB11_174:
	s_or_saveexec_b64 s[10:11], s[10:11]
                                        ; implicit-def: $sgpr12
	s_xor_b64 exec, exec, s[10:11]
	s_cbranch_execz .LBB11_64
.LBB11_175:
	s_mov_b32 s12, 0x42800000
	v_add_f32_e64 v3, |v2|, s12
	v_and_b32_e32 v3, 0xff, v3
	v_cmp_ne_u32_e32 vcc, 0, v3
	s_andn2_b64 s[8:9], s[8:9], exec
	s_and_b64 s[14:15], vcc, exec
	s_mov_b32 s12, 0
	s_or_b64 s[8:9], s[8:9], s[14:15]
	s_or_b64 exec, exec, s[10:11]
	v_mov_b32_e32 v6, s12
	s_and_saveexec_b64 s[10:11], s[8:9]
	s_cbranch_execnz .LBB11_65
	s_branch .LBB11_66
.LBB11_176:
	s_mov_b64 s[8:9], -1
	s_mov_b64 s[6:7], 0
	s_mov_b64 s[4:5], s[62:63]
.LBB11_177:
	s_and_b64 vcc, exec, s[8:9]
	s_cbranch_vccz .LBB11_182
; %bb.178:
	v_mov_b32_e32 v2, 44
	v_cmp_eq_u16_sdwa s[8:9], v25, v2 src0_sel:BYTE_0 src1_sel:DWORD
	s_mov_b64 s[4:5], -1
	s_and_b64 vcc, exec, s[8:9]
	s_cbranch_vccz .LBB11_182
; %bb.179:
	v_cvt_f32_f64_e32 v2, v[0:1]
	v_bfe_u32 v3, v2, 23, 8
	s_movk_i32 s4, 0xff
	v_cmp_ne_u32_e32 vcc, s4, v3
	v_mov_b32_e32 v6, 0xff
	s_and_saveexec_b64 s[6:7], vcc
; %bb.180:
	s_mov_b32 s4, 0x3fffff
	v_lshrrev_b32_e32 v6, 23, v2
	v_and_b32_e32 v7, 0x400000, v2
	v_and_or_b32 v2, v2, s4, v3
	v_cmp_ne_u32_e32 vcc, 0, v7
	v_cmp_ne_u32_e64 s[4:5], 0, v2
	s_and_b64 s[4:5], vcc, s[4:5]
	v_cndmask_b32_e64 v2, 0, 1, s[4:5]
	v_add_u32_e32 v6, v6, v2
; %bb.181:
	s_or_b64 exec, exec, s[6:7]
	s_mov_b64 s[6:7], -1
	s_mov_b64 s[4:5], 0
	global_store_byte v[4:5], v6, off
.LBB11_182:
	s_mov_b64 s[8:9], 0
.LBB11_183:
	s_and_b64 vcc, exec, s[8:9]
	s_cbranch_vccz .LBB11_186
; %bb.184:
	v_mov_b32_e32 v2, 29
	v_cmp_eq_u16_sdwa s[8:9], v25, v2 src0_sel:BYTE_0 src1_sel:DWORD
	s_mov_b64 s[4:5], -1
	s_and_b64 vcc, exec, s[8:9]
	s_cbranch_vccz .LBB11_186
; %bb.185:
	v_trunc_f64_e32 v[2:3], v[0:1]
	s_movk_i32 s4, 0xffe0
	v_ldexp_f64 v[6:7], v[2:3], s4
	v_floor_f64_e32 v[6:7], v[6:7]
	v_fmac_f64_e32 v[2:3], 0xc1f00000, v[6:7]
	v_cvt_u32_f64_e32 v9, v[6:7]
	v_cvt_u32_f64_e32 v8, v[2:3]
	global_store_dwordx2 v[4:5], v[8:9], off
	s_mov_b64 s[6:7], -1
	s_mov_b64 s[4:5], 0
.LBB11_186:
	s_mov_b64 s[8:9], 0
.LBB11_187:
	s_and_b64 vcc, exec, s[8:9]
	s_cbranch_vccz .LBB11_203
; %bb.188:
	v_mov_b32_e32 v2, 27
	v_cmp_lt_i16_sdwa s[8:9], v25, v2 src0_sel:BYTE_0 src1_sel:DWORD
	s_mov_b64 s[6:7], -1
	s_and_b64 vcc, exec, s[8:9]
	s_cbranch_vccnz .LBB11_194
; %bb.189:
	v_cmp_gt_i16_sdwa s[8:9], v25, v2 src0_sel:BYTE_0 src1_sel:DWORD
	s_and_b64 vcc, exec, s[8:9]
	v_cvt_u32_f64_e32 v2, v[0:1]
	s_cbranch_vccz .LBB11_191
; %bb.190:
	s_mov_b64 s[6:7], 0
	global_store_dword v[4:5], v2, off
.LBB11_191:
	s_andn2_b64 vcc, exec, s[6:7]
	s_cbranch_vccnz .LBB11_193
; %bb.192:
	global_store_short v[4:5], v2, off
.LBB11_193:
	s_mov_b64 s[6:7], 0
.LBB11_194:
	s_andn2_b64 vcc, exec, s[6:7]
	s_cbranch_vccnz .LBB11_202
; %bb.195:
	v_cvt_f32_f64_e32 v2, v[0:1]
	v_and_b32_e32 v3, 0x7fffffff, v2
	s_mov_b32 s6, 0x43800000
	v_cmp_gt_u32_e32 vcc, s6, v3
	v_mov_b32_e32 v6, 0x80
	s_and_saveexec_b64 s[6:7], vcc
	s_cbranch_execz .LBB11_201
; %bb.196:
	s_mov_b32 s8, 0x3bffffff
	v_cmp_lt_u32_e32 vcc, s8, v3
	s_mov_b64 s[8:9], 0
                                        ; implicit-def: $vgpr3
	s_and_saveexec_b64 s[10:11], vcc
	s_xor_b64 s[10:11], exec, s[10:11]
	s_cbranch_execz .LBB11_314
; %bb.197:
	v_bfe_u32 v3, v2, 20, 1
	s_mov_b32 s12, 0x487ffff
	v_add3_u32 v3, v2, v3, s12
	s_mov_b64 s[8:9], exec
	v_lshrrev_b32_e32 v3, 20, v3
	s_or_saveexec_b64 s[10:11], s[10:11]
                                        ; implicit-def: $sgpr12
	s_xor_b64 exec, exec, s[10:11]
	s_cbranch_execnz .LBB11_315
.LBB11_198:
	s_or_b64 exec, exec, s[10:11]
	v_mov_b32_e32 v6, s12
	s_and_saveexec_b64 s[10:11], s[8:9]
.LBB11_199:
	v_lshrrev_b32_e32 v2, 24, v2
	s_movk_i32 s8, 0x80
	v_and_or_b32 v6, v2, s8, v3
.LBB11_200:
	s_or_b64 exec, exec, s[10:11]
.LBB11_201:
	s_or_b64 exec, exec, s[6:7]
	global_store_byte v[4:5], v6, off
.LBB11_202:
	s_mov_b64 s[6:7], -1
.LBB11_203:
	s_mov_b64 s[8:9], 0
.LBB11_204:
	s_and_b64 vcc, exec, s[8:9]
	s_cbranch_vccz .LBB11_245
; %bb.205:
	v_mov_b32_e32 v2, 22
	v_cmp_gt_i16_sdwa s[10:11], v25, v2 src0_sel:BYTE_0 src1_sel:DWORD
	s_mov_b64 s[8:9], -1
	s_and_b64 vcc, exec, s[10:11]
	s_cbranch_vccz .LBB11_237
; %bb.206:
	v_mov_b32_e32 v2, 24
	v_cmp_lt_i16_sdwa s[8:9], v25, v2 src0_sel:BYTE_0 src1_sel:DWORD
	s_mov_b64 s[6:7], -1
	s_and_b64 vcc, exec, s[8:9]
	s_cbranch_vccnz .LBB11_226
; %bb.207:
	v_cmp_gt_i16_sdwa s[8:9], v25, v2 src0_sel:BYTE_0 src1_sel:DWORD
	s_and_b64 vcc, exec, s[8:9]
	s_cbranch_vccz .LBB11_215
; %bb.208:
	v_cvt_f32_f64_e32 v2, v[0:1]
	v_and_b32_e32 v3, 0x7fffffff, v2
	s_mov_b32 s6, 0x47800000
	v_cmp_gt_u32_e32 vcc, s6, v3
	v_mov_b32_e32 v6, 0x80
	s_and_saveexec_b64 s[6:7], vcc
	s_cbranch_execz .LBB11_214
; %bb.209:
	s_mov_b32 s8, 0x37ffffff
	v_cmp_lt_u32_e32 vcc, s8, v3
	s_mov_b64 s[8:9], 0
                                        ; implicit-def: $vgpr3
	s_and_saveexec_b64 s[10:11], vcc
	s_xor_b64 s[10:11], exec, s[10:11]
	s_cbranch_execz .LBB11_317
; %bb.210:
	v_bfe_u32 v3, v2, 21, 1
	s_mov_b32 s12, 0x88fffff
	v_add3_u32 v3, v2, v3, s12
	s_mov_b64 s[8:9], exec
	v_lshrrev_b32_e32 v3, 21, v3
	s_or_saveexec_b64 s[10:11], s[10:11]
                                        ; implicit-def: $sgpr12
	s_xor_b64 exec, exec, s[10:11]
	s_cbranch_execnz .LBB11_318
.LBB11_211:
	s_or_b64 exec, exec, s[10:11]
	v_mov_b32_e32 v6, s12
	s_and_saveexec_b64 s[10:11], s[8:9]
.LBB11_212:
	v_lshrrev_b32_e32 v2, 24, v2
	s_movk_i32 s8, 0x80
	v_and_or_b32 v6, v2, s8, v3
.LBB11_213:
	s_or_b64 exec, exec, s[10:11]
.LBB11_214:
	s_or_b64 exec, exec, s[6:7]
	s_mov_b64 s[6:7], 0
	global_store_byte v[4:5], v6, off
.LBB11_215:
	s_and_b64 vcc, exec, s[6:7]
	s_cbranch_vccz .LBB11_225
; %bb.216:
	v_cvt_f32_f64_e32 v2, v[0:1]
	v_and_b32_e32 v6, 0x7fffffff, v2
	s_mov_b32 s6, 0x43f00000
	v_cmp_gt_u32_e32 vcc, s6, v6
                                        ; implicit-def: $vgpr3
	s_and_saveexec_b64 s[6:7], vcc
	s_xor_b64 s[6:7], exec, s[6:7]
	s_cbranch_execz .LBB11_222
; %bb.217:
	s_mov_b32 s8, 0x3c7fffff
	v_cmp_lt_u32_e32 vcc, s8, v6
                                        ; implicit-def: $vgpr3
	s_and_saveexec_b64 s[8:9], vcc
	s_xor_b64 s[8:9], exec, s[8:9]
; %bb.218:
	v_bfe_u32 v3, v2, 20, 1
	s_mov_b32 s10, 0x407ffff
	v_add3_u32 v3, v2, v3, s10
	v_lshrrev_b32_e32 v6, 20, v3
	v_and_b32_e32 v3, 0xff00000, v3
	s_mov_b32 s10, 0x7f00000
	v_mov_b32_e32 v7, 0x7e
	v_cmp_ne_u32_e32 vcc, s10, v3
	v_cndmask_b32_e32 v3, v7, v6, vcc
; %bb.219:
	s_andn2_saveexec_b64 s[8:9], s[8:9]
; %bb.220:
	s_mov_b32 s10, 0x46800000
	v_add_f32_e64 v3, |v2|, s10
; %bb.221:
	s_or_b64 exec, exec, s[8:9]
                                        ; implicit-def: $vgpr6
.LBB11_222:
	s_andn2_saveexec_b64 s[6:7], s[6:7]
; %bb.223:
	s_mov_b32 s8, 0x7f800000
	v_mov_b32_e32 v3, 0x7e
	v_mov_b32_e32 v7, 0x7f
	v_cmp_lt_u32_e32 vcc, s8, v6
	v_cndmask_b32_e32 v3, v3, v7, vcc
; %bb.224:
	s_or_b64 exec, exec, s[6:7]
	v_lshrrev_b32_e32 v2, 24, v2
	s_movk_i32 s6, 0x80
	v_and_or_b32 v2, v2, s6, v3
	global_store_byte v[4:5], v2, off
.LBB11_225:
	s_mov_b64 s[6:7], 0
.LBB11_226:
	s_andn2_b64 vcc, exec, s[6:7]
	s_cbranch_vccnz .LBB11_236
; %bb.227:
	v_cvt_f32_f64_e32 v2, v[0:1]
	v_and_b32_e32 v6, 0x7fffffff, v2
	s_mov_b32 s6, 0x47800000
	v_cmp_gt_u32_e32 vcc, s6, v6
                                        ; implicit-def: $vgpr3
	s_and_saveexec_b64 s[6:7], vcc
	s_xor_b64 s[6:7], exec, s[6:7]
	s_cbranch_execz .LBB11_233
; %bb.228:
	s_mov_b32 s8, 0x387fffff
	v_cmp_lt_u32_e32 vcc, s8, v6
                                        ; implicit-def: $vgpr3
	s_and_saveexec_b64 s[8:9], vcc
	s_xor_b64 s[8:9], exec, s[8:9]
; %bb.229:
	v_bfe_u32 v3, v2, 21, 1
	s_mov_b32 s10, 0x80fffff
	v_add3_u32 v3, v2, v3, s10
	v_lshrrev_b32_e32 v3, 21, v3
; %bb.230:
	s_andn2_saveexec_b64 s[8:9], s[8:9]
; %bb.231:
	s_mov_b32 s10, 0x43000000
	v_add_f32_e64 v3, |v2|, s10
; %bb.232:
	s_or_b64 exec, exec, s[8:9]
                                        ; implicit-def: $vgpr6
.LBB11_233:
	s_andn2_saveexec_b64 s[6:7], s[6:7]
; %bb.234:
	s_mov_b32 s8, 0x7f800000
	v_mov_b32_e32 v3, 0x7c
	v_mov_b32_e32 v7, 0x7f
	v_cmp_lt_u32_e32 vcc, s8, v6
	v_cndmask_b32_e32 v3, v3, v7, vcc
; %bb.235:
	s_or_b64 exec, exec, s[6:7]
	v_lshrrev_b32_e32 v2, 24, v2
	s_movk_i32 s6, 0x80
	v_and_or_b32 v2, v2, s6, v3
	global_store_byte v[4:5], v2, off
.LBB11_236:
	s_mov_b64 s[8:9], 0
	s_mov_b64 s[6:7], -1
.LBB11_237:
	s_andn2_b64 vcc, exec, s[8:9]
	s_cbranch_vccnz .LBB11_245
; %bb.238:
	v_mov_b32_e32 v2, 14
	v_cmp_gt_i16_sdwa s[10:11], v25, v2 src0_sel:BYTE_0 src1_sel:DWORD
	s_mov_b64 s[8:9], -1
	s_and_b64 vcc, exec, s[10:11]
	s_cbranch_vccz .LBB11_242
; %bb.239:
	v_mov_b32_e32 v2, 15
	v_cmp_eq_u16_sdwa s[8:9], v25, v2 src0_sel:BYTE_0 src1_sel:DWORD
	s_mov_b64 s[4:5], -1
	s_and_b64 vcc, exec, s[8:9]
	s_cbranch_vccz .LBB11_241
; %bb.240:
	v_cvt_f32_f64_e32 v2, v[0:1]
	v_bfe_u32 v3, v2, 16, 1
	s_movk_i32 s4, 0x7fff
	v_add3_u32 v3, v2, v3, s4
	v_lshrrev_b32_e32 v3, 16, v3
	v_mov_b32_e32 v6, 0x7fc0
	v_cmp_o_f32_e32 vcc, v2, v2
	v_cndmask_b32_e32 v2, v6, v3, vcc
	global_store_short v[4:5], v2, off
	s_mov_b64 s[6:7], -1
	s_mov_b64 s[4:5], 0
.LBB11_241:
	s_mov_b64 s[8:9], 0
.LBB11_242:
	s_and_b64 vcc, exec, s[8:9]
	s_cbranch_vccz .LBB11_245
; %bb.243:
	v_mov_b32_e32 v2, 11
	v_cmp_eq_u16_sdwa s[8:9], v25, v2 src0_sel:BYTE_0 src1_sel:DWORD
	s_mov_b64 s[4:5], -1
	s_and_b64 vcc, exec, s[8:9]
	s_cbranch_vccz .LBB11_245
; %bb.244:
	v_cmp_neq_f64_e32 vcc, 0, v[0:1]
	s_mov_b64 s[4:5], 0
	v_cndmask_b32_e64 v2, 0, 1, vcc
	s_mov_b64 s[6:7], -1
	global_store_byte v[4:5], v2, off
.LBB11_245:
	s_branch .LBB11_167
.LBB11_246:
	v_mov_b32_e32 v2, 5
	v_cmp_lt_i16_sdwa s[8:9], v25, v2 src0_sel:BYTE_0 src1_sel:DWORD
	s_mov_b64 s[6:7], -1
	s_and_b64 vcc, exec, s[8:9]
	s_cbranch_vccnz .LBB11_267
; %bb.247:
	v_mov_b32_e32 v2, 8
	v_cmp_lt_i16_sdwa s[8:9], v25, v2 src0_sel:BYTE_0 src1_sel:DWORD
	s_and_b64 vcc, exec, s[8:9]
	s_cbranch_vccnz .LBB11_257
; %bb.248:
	v_mov_b32_e32 v2, 9
	v_cmp_lt_i16_sdwa s[8:9], v25, v2 src0_sel:BYTE_0 src1_sel:DWORD
	s_and_b64 vcc, exec, s[8:9]
	s_cbranch_vccnz .LBB11_254
; %bb.249:
	v_cmp_gt_i16_sdwa s[8:9], v25, v2 src0_sel:BYTE_0 src1_sel:DWORD
	s_and_b64 vcc, exec, s[8:9]
	s_cbranch_vccz .LBB11_251
; %bb.250:
	v_mov_b32_e32 v2, 0
	v_mov_b32_e32 v3, v2
	s_mov_b64 s[6:7], 0
	global_store_dwordx4 v[4:5], v[0:3], off
.LBB11_251:
	s_andn2_b64 vcc, exec, s[6:7]
	s_cbranch_vccnz .LBB11_253
; %bb.252:
	v_cvt_f32_f64_e32 v2, v[0:1]
	v_mov_b32_e32 v3, 0
	global_store_dwordx2 v[4:5], v[2:3], off
.LBB11_253:
	s_mov_b64 s[6:7], 0
.LBB11_254:
	s_andn2_b64 vcc, exec, s[6:7]
	s_cbranch_vccnz .LBB11_256
; %bb.255:
	v_cvt_f32_f64_e32 v2, v[0:1]
	v_cvt_f16_f32_e32 v2, v2
	global_store_dword v[4:5], v2, off
.LBB11_256:
	s_mov_b64 s[6:7], 0
.LBB11_257:
	s_andn2_b64 vcc, exec, s[6:7]
	s_cbranch_vccnz .LBB11_266
; %bb.258:
	v_mov_b32_e32 v2, 6
	v_cmp_lt_i16_sdwa s[8:9], v25, v2 src0_sel:BYTE_0 src1_sel:DWORD
	s_mov_b64 s[6:7], -1
	s_and_b64 vcc, exec, s[8:9]
	s_cbranch_vccnz .LBB11_264
; %bb.259:
	v_cmp_gt_i16_sdwa s[8:9], v25, v2 src0_sel:BYTE_0 src1_sel:DWORD
	s_and_b64 vcc, exec, s[8:9]
	s_cbranch_vccz .LBB11_261
; %bb.260:
	s_mov_b64 s[6:7], 0
	global_store_dwordx2 v[4:5], v[0:1], off
.LBB11_261:
	s_andn2_b64 vcc, exec, s[6:7]
	s_cbranch_vccnz .LBB11_263
; %bb.262:
	v_cvt_f32_f64_e32 v2, v[0:1]
	global_store_dword v[4:5], v2, off
.LBB11_263:
	s_mov_b64 s[6:7], 0
.LBB11_264:
	s_andn2_b64 vcc, exec, s[6:7]
	s_cbranch_vccnz .LBB11_266
; %bb.265:
	v_cvt_f32_f64_e32 v2, v[0:1]
	v_cvt_f16_f32_e32 v2, v2
	global_store_short v[4:5], v2, off
.LBB11_266:
	s_mov_b64 s[6:7], 0
.LBB11_267:
	s_andn2_b64 vcc, exec, s[6:7]
	s_cbranch_vccnz .LBB11_283
; %bb.268:
	v_mov_b32_e32 v2, 2
	v_cmp_lt_i16_sdwa s[8:9], v25, v2 src0_sel:BYTE_0 src1_sel:DWORD
	s_mov_b64 s[6:7], -1
	s_and_b64 vcc, exec, s[8:9]
	s_cbranch_vccnz .LBB11_278
; %bb.269:
	v_mov_b32_e32 v2, 3
	v_cmp_lt_i16_sdwa s[8:9], v25, v2 src0_sel:BYTE_0 src1_sel:DWORD
	s_and_b64 vcc, exec, s[8:9]
	s_cbranch_vccnz .LBB11_275
; %bb.270:
	v_cmp_gt_i16_sdwa s[8:9], v25, v2 src0_sel:BYTE_0 src1_sel:DWORD
	s_and_b64 vcc, exec, s[8:9]
	s_cbranch_vccz .LBB11_272
; %bb.271:
	v_trunc_f64_e32 v[2:3], v[0:1]
	s_movk_i32 s6, 0xffe0
	v_ldexp_f64 v[6:7], v[2:3], s6
	v_floor_f64_e32 v[6:7], v[6:7]
	v_fmac_f64_e32 v[2:3], 0xc1f00000, v[6:7]
	v_cvt_i32_f64_e32 v9, v[6:7]
	v_cvt_u32_f64_e32 v8, v[2:3]
	s_mov_b64 s[6:7], 0
	global_store_dwordx2 v[4:5], v[8:9], off
.LBB11_272:
	s_andn2_b64 vcc, exec, s[6:7]
	s_cbranch_vccnz .LBB11_274
; %bb.273:
	v_cvt_i32_f64_e32 v2, v[0:1]
	global_store_dword v[4:5], v2, off
.LBB11_274:
	s_mov_b64 s[6:7], 0
.LBB11_275:
	s_andn2_b64 vcc, exec, s[6:7]
	s_cbranch_vccnz .LBB11_277
; %bb.276:
	v_cvt_i32_f64_e32 v2, v[0:1]
	global_store_short v[4:5], v2, off
.LBB11_277:
	s_mov_b64 s[6:7], 0
.LBB11_278:
	s_andn2_b64 vcc, exec, s[6:7]
	s_cbranch_vccnz .LBB11_283
; %bb.279:
	v_mov_b32_e32 v2, 0
	v_cmp_gt_i16_sdwa s[8:9], v25, v2 src0_sel:BYTE_0 src1_sel:DWORD
	s_mov_b64 s[6:7], -1
	s_and_b64 vcc, exec, s[8:9]
	s_cbranch_vccz .LBB11_281
; %bb.280:
	v_cvt_i32_f64_e32 v2, v[0:1]
	s_mov_b64 s[6:7], 0
	global_store_byte v[4:5], v2, off
.LBB11_281:
	s_andn2_b64 vcc, exec, s[6:7]
	s_cbranch_vccnz .LBB11_283
; %bb.282:
	v_trunc_f64_e32 v[0:1], v[0:1]
	s_movk_i32 s6, 0xffe0
	v_ldexp_f64 v[2:3], v[0:1], s6
	v_floor_f64_e32 v[2:3], v[2:3]
	v_fmac_f64_e32 v[0:1], 0xc1f00000, v[2:3]
	v_cvt_u32_f64_e32 v0, v[0:1]
	global_store_byte v[4:5], v0, off
.LBB11_283:
	s_branch .LBB11_168
.LBB11_284:
	s_mov_b64 s[6:7], 0
                                        ; implicit-def: $vgpr24
.LBB11_285:
	s_andn2_b64 s[8:9], s[62:63], exec
	s_and_b64 s[4:5], s[4:5], exec
	s_or_b64 s[66:67], s[8:9], s[4:5]
	s_orn2_b64 s[8:9], s[6:7], exec
.LBB11_286:
	s_or_b64 exec, exec, s[68:69]
	s_mov_b64 s[4:5], 0
	s_mov_b64 s[6:7], 0
                                        ; implicit-def: $vgpr6
                                        ; implicit-def: $vgpr4_vgpr5
                                        ; implicit-def: $vgpr0_vgpr1
	s_and_saveexec_b64 s[68:69], s[8:9]
	s_cbranch_execz .LBB11_529
; %bb.287:
	v_cmp_gt_i32_e32 vcc, s74, v24
	s_mov_b64 s[6:7], -1
	s_mov_b64 s[72:73], s[66:67]
	s_and_saveexec_b64 s[70:71], vcc
	s_cbranch_execz .LBB11_432
; %bb.288:
	s_andn2_b64 vcc, exec, s[50:51]
	s_cbranch_vccnz .LBB11_294
; %bb.289:
	s_mov_b32 s24, 0
	s_andn2_b64 vcc, exec, s[60:61]
	v_mov_b32_e32 v2, 0
	v_mov_b32_e32 v22, 0
	s_cbranch_vccnz .LBB11_300
; %bb.290:
	s_add_i32 s72, s77, 1
	s_cmp_eq_u32 s76, 2
	s_cbranch_scc1 .LBB11_295
; %bb.291:
	s_and_b32 s24, s72, 28
	s_mov_b32 s25, 0
	v_mov_b32_e32 v22, 0
	s_mov_b64 s[26:27], s[34:35]
	s_mov_b64 s[30:31], s[58:59]
	v_mov_b32_e32 v0, v24
	v_mov_b32_e32 v2, 0
.LBB11_292:                             ; =>This Inner Loop Header: Depth=1
	s_load_dwordx8 s[12:19], s[26:27], 0x4
	s_load_dwordx4 s[20:23], s[26:27], 0x24
	s_load_dwordx8 s[4:11], s[30:31], 0x0
	s_add_u32 s26, s26, 48
	s_addc_u32 s27, s27, 0
	s_waitcnt lgkmcnt(0)
	v_mul_hi_u32 v1, s13, v0
	v_add_u32_e32 v1, v0, v1
	v_lshrrev_b32_e32 v1, s14, v1
	v_mul_lo_u32 v3, v1, s12
	v_mul_hi_u32 v4, s16, v1
	v_sub_u32_e32 v0, v0, v3
	v_add_u32_e32 v3, v1, v4
	v_lshrrev_b32_e32 v3, s17, v3
	v_mul_lo_u32 v5, v3, s15
	v_mul_hi_u32 v6, s19, v3
	v_sub_u32_e32 v1, v1, v5
	v_add_u32_e32 v5, v3, v6
	v_mul_lo_u32 v4, v0, s5
	v_mul_lo_u32 v0, v0, s4
	;; [unrolled: 1-line block ×4, first 2 shown]
	v_lshrrev_b32_e32 v5, s20, v5
	v_add3_u32 v1, v0, v22, v1
	v_add3_u32 v2, v4, v2, v6
	v_mul_lo_u32 v0, v5, s18
	v_mul_hi_u32 v4, s22, v5
	v_sub_u32_e32 v0, v3, v0
	v_add_u32_e32 v3, v5, v4
	v_mul_lo_u32 v4, v0, s8
	v_mul_lo_u32 v6, v0, s9
	v_lshrrev_b32_e32 v0, s23, v3
	s_add_i32 s25, s25, 4
	v_mul_lo_u32 v3, v0, s21
	s_add_u32 s30, s30, 32
	v_sub_u32_e32 v3, v5, v3
	s_addc_u32 s31, s31, 0
	v_mul_lo_u32 v5, v3, s10
	v_mul_lo_u32 v3, v3, s11
	s_cmp_eq_u32 s24, s25
	v_add3_u32 v2, v6, v2, v3
	v_add3_u32 v22, v4, v1, v5
	s_cbranch_scc0 .LBB11_292
; %bb.293:
	v_mov_b32_e32 v23, v2
	s_branch .LBB11_296
.LBB11_294:
	s_mov_b64 s[4:5], -1
                                        ; implicit-def: $vgpr2
                                        ; implicit-def: $vgpr22
	s_branch .LBB11_301
.LBB11_295:
	s_mov_b32 s25, s24
	v_pk_mov_b32 v[22:23], s[24:25], s[24:25] op_sel:[0,1]
                                        ; implicit-def: $vgpr2
	v_mov_b32_e32 v0, v24
.LBB11_296:
	s_and_b32 s8, s72, 3
	s_cmp_eq_u32 s8, 0
	s_cbranch_scc1 .LBB11_300
; %bb.297:
	s_lshl_b32 s4, s24, 3
	s_add_u32 s4, s4, s34
	s_addc_u32 s5, s35, 0
	s_add_u32 s4, s4, 0xc4
	s_addc_u32 s5, s5, 0
	s_mul_i32 s6, s24, 12
	s_add_u32 s6, s34, s6
	s_addc_u32 s7, s35, 0
.LBB11_298:                             ; =>This Inner Loop Header: Depth=1
	s_load_dwordx2 s[10:11], s[6:7], 0x4
	s_load_dword s9, s[6:7], 0xc
	s_load_dwordx2 s[12:13], s[4:5], 0x0
	s_add_u32 s6, s6, 12
	s_addc_u32 s7, s7, 0
	s_waitcnt lgkmcnt(0)
	v_mul_hi_u32 v1, s11, v0
	v_add_u32_e32 v1, v0, v1
	v_lshrrev_b32_e32 v1, s9, v1
	v_mul_lo_u32 v3, v1, s10
	v_mov_b32_e32 v2, v23
	s_add_u32 s4, s4, 8
	v_sub_u32_e32 v4, v0, v3
	s_addc_u32 s5, s5, 0
	s_add_i32 s8, s8, -1
	v_mad_u64_u32 v[2:3], s[10:11], v4, s13, v[2:3]
	v_mad_u64_u32 v[22:23], s[10:11], v4, s12, v[22:23]
	s_cmp_lg_u32 s8, 0
	v_mov_b32_e32 v0, v1
	v_mov_b32_e32 v23, v2
	s_cbranch_scc1 .LBB11_298
; %bb.299:
	v_mov_b32_e32 v2, v23
.LBB11_300:
	s_mov_b64 s[4:5], 0
.LBB11_301:
	s_andn2_b64 vcc, exec, s[4:5]
	s_cbranch_vccnz .LBB11_304
; %bb.302:
	s_waitcnt lgkmcnt(0)
	v_mul_hi_u32 v0, s45, v24
	v_add_u32_e32 v0, v24, v0
	v_lshrrev_b32_e32 v0, s46, v0
	v_mul_lo_u32 v1, v0, s44
	v_sub_u32_e32 v1, v24, v1
	v_mul_lo_u32 v2, v1, s41
	s_andn2_b64 vcc, exec, s[56:57]
	v_mul_lo_u32 v22, v1, s40
	s_cbranch_vccnz .LBB11_304
; %bb.303:
	v_mul_hi_u32 v1, s54, v0
	v_add_u32_e32 v1, v0, v1
	v_lshrrev_b32_e32 v1, s55, v1
	v_mul_lo_u32 v1, v1, s47
	v_sub_u32_e32 v0, v0, v1
	v_mad_u64_u32 v[22:23], s[4:5], v0, s42, v[22:23]
	v_mad_u64_u32 v[2:3], s[4:5], v0, s43, v[2:3]
.LBB11_304:
	s_waitcnt lgkmcnt(0)
	v_mov_b32_e32 v0, s38
	v_mov_b32_e32 v1, s39
	;; [unrolled: 1-line block ×3, first 2 shown]
	s_getpc_b64 s[4:5]
	s_add_u32 s4, s4, _ZN2at6native6invokeIZZZNS0_12_GLOBAL__N_130modified_bessel_k0_kernel_cudaERNS_18TensorIteratorBaseEENKUlvE_clEvENKUlvE_clEvEUldE_j15function_traitsIS7_EEENT1_11result_typeERKT_PrKPcPKT0_PKN3c1010ScalarTypeEi@rel32@lo+4
	s_addc_u32 s5, s5, _ZN2at6native6invokeIZZZNS0_12_GLOBAL__N_130modified_bessel_k0_kernel_cudaERNS_18TensorIteratorBaseEENKUlvE_clEvENKUlvE_clEvEUldE_j15function_traitsIS7_EEENT1_11result_typeERKT_PrKPcPKT0_PKN3c1010ScalarTypeEi@rel32@hi+12
	s_swappc_b64 s[30:31], s[4:5]
	v_mov_b32_e32 v2, s37
	v_add_co_u32_e32 v4, vcc, s36, v22
	v_addc_co_u32_e32 v5, vcc, 0, v2, vcc
	v_mov_b32_e32 v2, 11
	v_cmp_lt_i16_sdwa s[4:5], v25, v2 src0_sel:BYTE_0 src1_sel:DWORD
	s_and_b64 vcc, exec, s[4:5]
	s_cbranch_vccnz .LBB11_311
; %bb.305:
	v_mov_b32_e32 v2, 25
	v_cmp_gt_i16_sdwa s[4:5], v25, v2 src0_sel:BYTE_0 src1_sel:DWORD
	s_and_b64 vcc, exec, s[4:5]
	s_cbranch_vccz .LBB11_312
; %bb.306:
	v_mov_b32_e32 v2, 28
	v_cmp_gt_i16_sdwa s[4:5], v25, v2 src0_sel:BYTE_0 src1_sel:DWORD
	s_and_b64 vcc, exec, s[4:5]
	s_cbranch_vccz .LBB11_313
	;; [unrolled: 5-line block ×4, first 2 shown]
; %bb.309:
	v_mov_b32_e32 v2, 46
	v_cmp_eq_u16_sdwa s[6:7], v25, v2 src0_sel:BYTE_0 src1_sel:DWORD
	s_mov_b64 s[8:9], 0
	s_mov_b64 s[4:5], -1
	s_and_b64 vcc, exec, s[6:7]
	s_mov_b64 s[6:7], 0
	s_cbranch_vccz .LBB11_320
; %bb.310:
	v_cvt_f32_f64_e32 v2, v[0:1]
	v_bfe_u32 v3, v2, 16, 1
	s_movk_i32 s4, 0x7fff
	v_add3_u32 v3, v2, v3, s4
	v_lshrrev_b32_e32 v3, 16, v3
	v_mov_b32_e32 v6, 0x7fc0
	v_cmp_o_f32_e32 vcc, v2, v2
	v_cndmask_b32_e32 v2, v6, v3, vcc
	global_store_dword v[4:5], v2, off
	s_mov_b64 s[6:7], -1
	s_mov_b64 s[4:5], 0
	s_branch .LBB11_320
.LBB11_311:
	s_mov_b64 s[8:9], -1
	s_mov_b64 s[6:7], 0
	s_mov_b64 s[4:5], s[66:67]
	s_branch .LBB11_389
.LBB11_312:
	s_mov_b64 s[8:9], -1
	s_mov_b64 s[6:7], 0
	s_mov_b64 s[4:5], s[66:67]
	s_branch .LBB11_347
.LBB11_313:
	s_mov_b64 s[8:9], -1
	s_mov_b64 s[6:7], 0
	s_mov_b64 s[4:5], s[66:67]
	s_branch .LBB11_330
.LBB11_314:
	s_or_saveexec_b64 s[10:11], s[10:11]
                                        ; implicit-def: $sgpr12
	s_xor_b64 exec, exec, s[10:11]
	s_cbranch_execz .LBB11_198
.LBB11_315:
	s_mov_b32 s12, 0x46000000
	v_add_f32_e64 v3, |v2|, s12
	v_and_b32_e32 v3, 0xff, v3
	v_cmp_ne_u32_e32 vcc, 0, v3
	s_andn2_b64 s[8:9], s[8:9], exec
	s_and_b64 s[14:15], vcc, exec
	s_mov_b32 s12, 0
	s_or_b64 s[8:9], s[8:9], s[14:15]
	s_or_b64 exec, exec, s[10:11]
	v_mov_b32_e32 v6, s12
	s_and_saveexec_b64 s[10:11], s[8:9]
	s_cbranch_execnz .LBB11_199
	s_branch .LBB11_200
.LBB11_316:
	s_mov_b64 s[8:9], -1
	s_mov_b64 s[6:7], 0
	s_mov_b64 s[4:5], s[66:67]
	s_branch .LBB11_326
.LBB11_317:
	s_or_saveexec_b64 s[10:11], s[10:11]
                                        ; implicit-def: $sgpr12
	s_xor_b64 exec, exec, s[10:11]
	s_cbranch_execz .LBB11_211
.LBB11_318:
	s_mov_b32 s12, 0x42800000
	v_add_f32_e64 v3, |v2|, s12
	v_and_b32_e32 v3, 0xff, v3
	v_cmp_ne_u32_e32 vcc, 0, v3
	s_andn2_b64 s[8:9], s[8:9], exec
	s_and_b64 s[14:15], vcc, exec
	s_mov_b32 s12, 0
	s_or_b64 s[8:9], s[8:9], s[14:15]
	s_or_b64 exec, exec, s[10:11]
	v_mov_b32_e32 v6, s12
	s_and_saveexec_b64 s[10:11], s[8:9]
	s_cbranch_execnz .LBB11_212
	s_branch .LBB11_213
.LBB11_319:
	s_mov_b64 s[8:9], -1
	s_mov_b64 s[6:7], 0
	s_mov_b64 s[4:5], s[66:67]
.LBB11_320:
	s_and_b64 vcc, exec, s[8:9]
	s_cbranch_vccz .LBB11_325
; %bb.321:
	v_mov_b32_e32 v2, 44
	v_cmp_eq_u16_sdwa s[8:9], v25, v2 src0_sel:BYTE_0 src1_sel:DWORD
	s_mov_b64 s[4:5], -1
	s_and_b64 vcc, exec, s[8:9]
	s_cbranch_vccz .LBB11_325
; %bb.322:
	v_cvt_f32_f64_e32 v2, v[0:1]
	v_bfe_u32 v3, v2, 23, 8
	s_movk_i32 s4, 0xff
	v_cmp_ne_u32_e32 vcc, s4, v3
	v_mov_b32_e32 v6, 0xff
	s_and_saveexec_b64 s[6:7], vcc
; %bb.323:
	s_mov_b32 s4, 0x3fffff
	v_lshrrev_b32_e32 v6, 23, v2
	v_and_b32_e32 v7, 0x400000, v2
	v_and_or_b32 v2, v2, s4, v3
	v_cmp_ne_u32_e32 vcc, 0, v7
	v_cmp_ne_u32_e64 s[4:5], 0, v2
	s_and_b64 s[4:5], vcc, s[4:5]
	v_cndmask_b32_e64 v2, 0, 1, s[4:5]
	v_add_u32_e32 v6, v6, v2
; %bb.324:
	s_or_b64 exec, exec, s[6:7]
	s_mov_b64 s[6:7], -1
	s_mov_b64 s[4:5], 0
	global_store_byte v[4:5], v6, off
.LBB11_325:
	s_mov_b64 s[8:9], 0
.LBB11_326:
	s_and_b64 vcc, exec, s[8:9]
	s_cbranch_vccz .LBB11_329
; %bb.327:
	v_mov_b32_e32 v2, 29
	v_cmp_eq_u16_sdwa s[8:9], v25, v2 src0_sel:BYTE_0 src1_sel:DWORD
	s_mov_b64 s[4:5], -1
	s_and_b64 vcc, exec, s[8:9]
	s_cbranch_vccz .LBB11_329
; %bb.328:
	v_trunc_f64_e32 v[2:3], v[0:1]
	s_movk_i32 s4, 0xffe0
	v_ldexp_f64 v[6:7], v[2:3], s4
	v_floor_f64_e32 v[6:7], v[6:7]
	v_fmac_f64_e32 v[2:3], 0xc1f00000, v[6:7]
	v_cvt_u32_f64_e32 v9, v[6:7]
	v_cvt_u32_f64_e32 v8, v[2:3]
	global_store_dwordx2 v[4:5], v[8:9], off
	s_mov_b64 s[6:7], -1
	s_mov_b64 s[4:5], 0
.LBB11_329:
	s_mov_b64 s[8:9], 0
.LBB11_330:
	s_and_b64 vcc, exec, s[8:9]
	s_cbranch_vccz .LBB11_346
; %bb.331:
	v_mov_b32_e32 v2, 27
	v_cmp_lt_i16_sdwa s[8:9], v25, v2 src0_sel:BYTE_0 src1_sel:DWORD
	s_mov_b64 s[6:7], -1
	s_and_b64 vcc, exec, s[8:9]
	s_cbranch_vccnz .LBB11_337
; %bb.332:
	v_cmp_gt_i16_sdwa s[8:9], v25, v2 src0_sel:BYTE_0 src1_sel:DWORD
	s_and_b64 vcc, exec, s[8:9]
	v_cvt_u32_f64_e32 v2, v[0:1]
	s_cbranch_vccz .LBB11_334
; %bb.333:
	s_mov_b64 s[6:7], 0
	global_store_dword v[4:5], v2, off
.LBB11_334:
	s_andn2_b64 vcc, exec, s[6:7]
	s_cbranch_vccnz .LBB11_336
; %bb.335:
	global_store_short v[4:5], v2, off
.LBB11_336:
	s_mov_b64 s[6:7], 0
.LBB11_337:
	s_andn2_b64 vcc, exec, s[6:7]
	s_cbranch_vccnz .LBB11_345
; %bb.338:
	v_cvt_f32_f64_e32 v2, v[0:1]
	v_and_b32_e32 v3, 0x7fffffff, v2
	s_mov_b32 s6, 0x43800000
	v_cmp_gt_u32_e32 vcc, s6, v3
	v_mov_b32_e32 v6, 0x80
	s_and_saveexec_b64 s[6:7], vcc
	s_cbranch_execz .LBB11_344
; %bb.339:
	s_mov_b32 s8, 0x3bffffff
	v_cmp_lt_u32_e32 vcc, s8, v3
	s_mov_b64 s[8:9], 0
                                        ; implicit-def: $vgpr3
	s_and_saveexec_b64 s[10:11], vcc
	s_xor_b64 s[10:11], exec, s[10:11]
	s_cbranch_execz .LBB11_1123
; %bb.340:
	v_bfe_u32 v3, v2, 20, 1
	s_mov_b32 s12, 0x487ffff
	v_add3_u32 v3, v2, v3, s12
	s_mov_b64 s[8:9], exec
	v_lshrrev_b32_e32 v3, 20, v3
	s_or_saveexec_b64 s[10:11], s[10:11]
                                        ; implicit-def: $sgpr12
	s_xor_b64 exec, exec, s[10:11]
	s_cbranch_execnz .LBB11_1124
.LBB11_341:
	s_or_b64 exec, exec, s[10:11]
	v_mov_b32_e32 v6, s12
	s_and_saveexec_b64 s[10:11], s[8:9]
.LBB11_342:
	v_lshrrev_b32_e32 v2, 24, v2
	s_movk_i32 s8, 0x80
	v_and_or_b32 v6, v2, s8, v3
.LBB11_343:
	s_or_b64 exec, exec, s[10:11]
.LBB11_344:
	s_or_b64 exec, exec, s[6:7]
	global_store_byte v[4:5], v6, off
.LBB11_345:
	s_mov_b64 s[6:7], -1
.LBB11_346:
	s_mov_b64 s[8:9], 0
.LBB11_347:
	s_and_b64 vcc, exec, s[8:9]
	s_cbranch_vccz .LBB11_388
; %bb.348:
	v_mov_b32_e32 v2, 22
	v_cmp_gt_i16_sdwa s[10:11], v25, v2 src0_sel:BYTE_0 src1_sel:DWORD
	s_mov_b64 s[8:9], -1
	s_and_b64 vcc, exec, s[10:11]
	s_cbranch_vccz .LBB11_380
; %bb.349:
	v_mov_b32_e32 v2, 24
	v_cmp_lt_i16_sdwa s[8:9], v25, v2 src0_sel:BYTE_0 src1_sel:DWORD
	s_mov_b64 s[6:7], -1
	s_and_b64 vcc, exec, s[8:9]
	s_cbranch_vccnz .LBB11_369
; %bb.350:
	v_cmp_gt_i16_sdwa s[8:9], v25, v2 src0_sel:BYTE_0 src1_sel:DWORD
	s_and_b64 vcc, exec, s[8:9]
	s_cbranch_vccz .LBB11_358
; %bb.351:
	v_cvt_f32_f64_e32 v2, v[0:1]
	v_and_b32_e32 v3, 0x7fffffff, v2
	s_mov_b32 s6, 0x47800000
	v_cmp_gt_u32_e32 vcc, s6, v3
	v_mov_b32_e32 v6, 0x80
	s_and_saveexec_b64 s[6:7], vcc
	s_cbranch_execz .LBB11_357
; %bb.352:
	s_mov_b32 s8, 0x37ffffff
	v_cmp_lt_u32_e32 vcc, s8, v3
	s_mov_b64 s[8:9], 0
                                        ; implicit-def: $vgpr3
	s_and_saveexec_b64 s[10:11], vcc
	s_xor_b64 s[10:11], exec, s[10:11]
	s_cbranch_execz .LBB11_1130
; %bb.353:
	v_bfe_u32 v3, v2, 21, 1
	s_mov_b32 s12, 0x88fffff
	v_add3_u32 v3, v2, v3, s12
	s_mov_b64 s[8:9], exec
	v_lshrrev_b32_e32 v3, 21, v3
	s_or_saveexec_b64 s[10:11], s[10:11]
                                        ; implicit-def: $sgpr12
	s_xor_b64 exec, exec, s[10:11]
	s_cbranch_execnz .LBB11_1131
.LBB11_354:
	s_or_b64 exec, exec, s[10:11]
	v_mov_b32_e32 v6, s12
	s_and_saveexec_b64 s[10:11], s[8:9]
.LBB11_355:
	v_lshrrev_b32_e32 v2, 24, v2
	s_movk_i32 s8, 0x80
	v_and_or_b32 v6, v2, s8, v3
.LBB11_356:
	s_or_b64 exec, exec, s[10:11]
.LBB11_357:
	s_or_b64 exec, exec, s[6:7]
	s_mov_b64 s[6:7], 0
	global_store_byte v[4:5], v6, off
.LBB11_358:
	s_and_b64 vcc, exec, s[6:7]
	s_cbranch_vccz .LBB11_368
; %bb.359:
	v_cvt_f32_f64_e32 v2, v[0:1]
	v_and_b32_e32 v6, 0x7fffffff, v2
	s_mov_b32 s6, 0x43f00000
	v_cmp_gt_u32_e32 vcc, s6, v6
                                        ; implicit-def: $vgpr3
	s_and_saveexec_b64 s[6:7], vcc
	s_xor_b64 s[6:7], exec, s[6:7]
	s_cbranch_execz .LBB11_365
; %bb.360:
	s_mov_b32 s8, 0x3c7fffff
	v_cmp_lt_u32_e32 vcc, s8, v6
                                        ; implicit-def: $vgpr3
	s_and_saveexec_b64 s[8:9], vcc
	s_xor_b64 s[8:9], exec, s[8:9]
; %bb.361:
	v_bfe_u32 v3, v2, 20, 1
	s_mov_b32 s10, 0x407ffff
	v_add3_u32 v3, v2, v3, s10
	v_lshrrev_b32_e32 v6, 20, v3
	v_and_b32_e32 v3, 0xff00000, v3
	s_mov_b32 s10, 0x7f00000
	v_mov_b32_e32 v7, 0x7e
	v_cmp_ne_u32_e32 vcc, s10, v3
	v_cndmask_b32_e32 v3, v7, v6, vcc
; %bb.362:
	s_andn2_saveexec_b64 s[8:9], s[8:9]
; %bb.363:
	s_mov_b32 s10, 0x46800000
	v_add_f32_e64 v3, |v2|, s10
; %bb.364:
	s_or_b64 exec, exec, s[8:9]
                                        ; implicit-def: $vgpr6
.LBB11_365:
	s_andn2_saveexec_b64 s[6:7], s[6:7]
; %bb.366:
	s_mov_b32 s8, 0x7f800000
	v_mov_b32_e32 v3, 0x7e
	v_mov_b32_e32 v7, 0x7f
	v_cmp_lt_u32_e32 vcc, s8, v6
	v_cndmask_b32_e32 v3, v3, v7, vcc
; %bb.367:
	s_or_b64 exec, exec, s[6:7]
	v_lshrrev_b32_e32 v2, 24, v2
	s_movk_i32 s6, 0x80
	v_and_or_b32 v2, v2, s6, v3
	global_store_byte v[4:5], v2, off
.LBB11_368:
	s_mov_b64 s[6:7], 0
.LBB11_369:
	s_andn2_b64 vcc, exec, s[6:7]
	s_cbranch_vccnz .LBB11_379
; %bb.370:
	v_cvt_f32_f64_e32 v2, v[0:1]
	v_and_b32_e32 v6, 0x7fffffff, v2
	s_mov_b32 s6, 0x47800000
	v_cmp_gt_u32_e32 vcc, s6, v6
                                        ; implicit-def: $vgpr3
	s_and_saveexec_b64 s[6:7], vcc
	s_xor_b64 s[6:7], exec, s[6:7]
	s_cbranch_execz .LBB11_376
; %bb.371:
	s_mov_b32 s8, 0x387fffff
	v_cmp_lt_u32_e32 vcc, s8, v6
                                        ; implicit-def: $vgpr3
	s_and_saveexec_b64 s[8:9], vcc
	s_xor_b64 s[8:9], exec, s[8:9]
; %bb.372:
	v_bfe_u32 v3, v2, 21, 1
	s_mov_b32 s10, 0x80fffff
	v_add3_u32 v3, v2, v3, s10
	v_lshrrev_b32_e32 v3, 21, v3
; %bb.373:
	s_andn2_saveexec_b64 s[8:9], s[8:9]
; %bb.374:
	s_mov_b32 s10, 0x43000000
	v_add_f32_e64 v3, |v2|, s10
; %bb.375:
	s_or_b64 exec, exec, s[8:9]
                                        ; implicit-def: $vgpr6
.LBB11_376:
	s_andn2_saveexec_b64 s[6:7], s[6:7]
; %bb.377:
	s_mov_b32 s8, 0x7f800000
	v_mov_b32_e32 v3, 0x7c
	v_mov_b32_e32 v7, 0x7f
	v_cmp_lt_u32_e32 vcc, s8, v6
	v_cndmask_b32_e32 v3, v3, v7, vcc
; %bb.378:
	s_or_b64 exec, exec, s[6:7]
	v_lshrrev_b32_e32 v2, 24, v2
	s_movk_i32 s6, 0x80
	v_and_or_b32 v2, v2, s6, v3
	global_store_byte v[4:5], v2, off
.LBB11_379:
	s_mov_b64 s[8:9], 0
	s_mov_b64 s[6:7], -1
.LBB11_380:
	s_andn2_b64 vcc, exec, s[8:9]
	s_cbranch_vccnz .LBB11_388
; %bb.381:
	v_mov_b32_e32 v2, 14
	v_cmp_gt_i16_sdwa s[10:11], v25, v2 src0_sel:BYTE_0 src1_sel:DWORD
	s_mov_b64 s[8:9], -1
	s_and_b64 vcc, exec, s[10:11]
	s_cbranch_vccz .LBB11_385
; %bb.382:
	v_mov_b32_e32 v2, 15
	v_cmp_eq_u16_sdwa s[8:9], v25, v2 src0_sel:BYTE_0 src1_sel:DWORD
	s_mov_b64 s[4:5], -1
	s_and_b64 vcc, exec, s[8:9]
	s_cbranch_vccz .LBB11_384
; %bb.383:
	v_cvt_f32_f64_e32 v2, v[0:1]
	v_bfe_u32 v3, v2, 16, 1
	s_movk_i32 s4, 0x7fff
	v_add3_u32 v3, v2, v3, s4
	v_lshrrev_b32_e32 v3, 16, v3
	v_mov_b32_e32 v6, 0x7fc0
	v_cmp_o_f32_e32 vcc, v2, v2
	v_cndmask_b32_e32 v2, v6, v3, vcc
	global_store_short v[4:5], v2, off
	s_mov_b64 s[6:7], -1
	s_mov_b64 s[4:5], 0
.LBB11_384:
	s_mov_b64 s[8:9], 0
.LBB11_385:
	s_and_b64 vcc, exec, s[8:9]
	s_cbranch_vccz .LBB11_388
; %bb.386:
	v_mov_b32_e32 v2, 11
	v_cmp_eq_u16_sdwa s[8:9], v25, v2 src0_sel:BYTE_0 src1_sel:DWORD
	s_mov_b64 s[4:5], -1
	s_and_b64 vcc, exec, s[8:9]
	s_cbranch_vccz .LBB11_388
; %bb.387:
	v_cmp_neq_f64_e32 vcc, 0, v[0:1]
	s_mov_b64 s[4:5], 0
	v_cndmask_b32_e64 v2, 0, 1, vcc
	s_mov_b64 s[6:7], -1
	global_store_byte v[4:5], v2, off
.LBB11_388:
	s_mov_b64 s[8:9], 0
.LBB11_389:
	s_and_b64 vcc, exec, s[8:9]
	s_cbranch_vccz .LBB11_428
; %bb.390:
	v_mov_b32_e32 v2, 5
	v_cmp_lt_i16_sdwa s[8:9], v25, v2 src0_sel:BYTE_0 src1_sel:DWORD
	s_mov_b64 s[6:7], -1
	s_and_b64 vcc, exec, s[8:9]
	s_cbranch_vccnz .LBB11_411
; %bb.391:
	v_mov_b32_e32 v2, 8
	v_cmp_lt_i16_sdwa s[8:9], v25, v2 src0_sel:BYTE_0 src1_sel:DWORD
	s_and_b64 vcc, exec, s[8:9]
	s_cbranch_vccnz .LBB11_401
; %bb.392:
	v_mov_b32_e32 v2, 9
	v_cmp_lt_i16_sdwa s[8:9], v25, v2 src0_sel:BYTE_0 src1_sel:DWORD
	s_and_b64 vcc, exec, s[8:9]
	s_cbranch_vccnz .LBB11_398
; %bb.393:
	v_cmp_gt_i16_sdwa s[8:9], v25, v2 src0_sel:BYTE_0 src1_sel:DWORD
	s_and_b64 vcc, exec, s[8:9]
	s_cbranch_vccz .LBB11_395
; %bb.394:
	v_mov_b32_e32 v2, 0
	v_mov_b32_e32 v3, v2
	s_mov_b64 s[6:7], 0
	global_store_dwordx4 v[4:5], v[0:3], off
.LBB11_395:
	s_andn2_b64 vcc, exec, s[6:7]
	s_cbranch_vccnz .LBB11_397
; %bb.396:
	v_cvt_f32_f64_e32 v2, v[0:1]
	v_mov_b32_e32 v3, 0
	global_store_dwordx2 v[4:5], v[2:3], off
.LBB11_397:
	s_mov_b64 s[6:7], 0
.LBB11_398:
	s_andn2_b64 vcc, exec, s[6:7]
	s_cbranch_vccnz .LBB11_400
; %bb.399:
	v_cvt_f32_f64_e32 v2, v[0:1]
	v_cvt_f16_f32_e32 v2, v2
	global_store_dword v[4:5], v2, off
.LBB11_400:
	s_mov_b64 s[6:7], 0
.LBB11_401:
	s_andn2_b64 vcc, exec, s[6:7]
	s_cbranch_vccnz .LBB11_410
; %bb.402:
	v_mov_b32_e32 v2, 6
	v_cmp_lt_i16_sdwa s[8:9], v25, v2 src0_sel:BYTE_0 src1_sel:DWORD
	s_mov_b64 s[6:7], -1
	s_and_b64 vcc, exec, s[8:9]
	s_cbranch_vccnz .LBB11_408
; %bb.403:
	v_cmp_gt_i16_sdwa s[8:9], v25, v2 src0_sel:BYTE_0 src1_sel:DWORD
	s_and_b64 vcc, exec, s[8:9]
	s_cbranch_vccz .LBB11_405
; %bb.404:
	s_mov_b64 s[6:7], 0
	global_store_dwordx2 v[4:5], v[0:1], off
.LBB11_405:
	s_andn2_b64 vcc, exec, s[6:7]
	s_cbranch_vccnz .LBB11_407
; %bb.406:
	v_cvt_f32_f64_e32 v2, v[0:1]
	global_store_dword v[4:5], v2, off
.LBB11_407:
	s_mov_b64 s[6:7], 0
.LBB11_408:
	s_andn2_b64 vcc, exec, s[6:7]
	s_cbranch_vccnz .LBB11_410
; %bb.409:
	v_cvt_f32_f64_e32 v2, v[0:1]
	v_cvt_f16_f32_e32 v2, v2
	global_store_short v[4:5], v2, off
.LBB11_410:
	s_mov_b64 s[6:7], 0
.LBB11_411:
	s_andn2_b64 vcc, exec, s[6:7]
	s_cbranch_vccnz .LBB11_427
; %bb.412:
	v_mov_b32_e32 v2, 2
	v_cmp_lt_i16_sdwa s[8:9], v25, v2 src0_sel:BYTE_0 src1_sel:DWORD
	s_mov_b64 s[6:7], -1
	s_and_b64 vcc, exec, s[8:9]
	s_cbranch_vccnz .LBB11_422
; %bb.413:
	v_mov_b32_e32 v2, 3
	v_cmp_lt_i16_sdwa s[8:9], v25, v2 src0_sel:BYTE_0 src1_sel:DWORD
	s_and_b64 vcc, exec, s[8:9]
	s_cbranch_vccnz .LBB11_419
; %bb.414:
	v_cmp_gt_i16_sdwa s[8:9], v25, v2 src0_sel:BYTE_0 src1_sel:DWORD
	s_and_b64 vcc, exec, s[8:9]
	s_cbranch_vccz .LBB11_416
; %bb.415:
	v_trunc_f64_e32 v[2:3], v[0:1]
	s_movk_i32 s6, 0xffe0
	v_ldexp_f64 v[6:7], v[2:3], s6
	v_floor_f64_e32 v[6:7], v[6:7]
	v_fmac_f64_e32 v[2:3], 0xc1f00000, v[6:7]
	v_cvt_i32_f64_e32 v9, v[6:7]
	v_cvt_u32_f64_e32 v8, v[2:3]
	s_mov_b64 s[6:7], 0
	global_store_dwordx2 v[4:5], v[8:9], off
.LBB11_416:
	s_andn2_b64 vcc, exec, s[6:7]
	s_cbranch_vccnz .LBB11_418
; %bb.417:
	v_cvt_i32_f64_e32 v2, v[0:1]
	global_store_dword v[4:5], v2, off
.LBB11_418:
	s_mov_b64 s[6:7], 0
.LBB11_419:
	s_andn2_b64 vcc, exec, s[6:7]
	s_cbranch_vccnz .LBB11_421
; %bb.420:
	v_cvt_i32_f64_e32 v2, v[0:1]
	global_store_short v[4:5], v2, off
.LBB11_421:
	s_mov_b64 s[6:7], 0
.LBB11_422:
	s_andn2_b64 vcc, exec, s[6:7]
	s_cbranch_vccnz .LBB11_427
; %bb.423:
	v_mov_b32_e32 v2, 0
	v_cmp_gt_i16_sdwa s[8:9], v25, v2 src0_sel:BYTE_0 src1_sel:DWORD
	s_mov_b64 s[6:7], -1
	s_and_b64 vcc, exec, s[8:9]
	s_cbranch_vccz .LBB11_425
; %bb.424:
	v_cvt_i32_f64_e32 v2, v[0:1]
	s_mov_b64 s[6:7], 0
	global_store_byte v[4:5], v2, off
.LBB11_425:
	s_andn2_b64 vcc, exec, s[6:7]
	s_cbranch_vccnz .LBB11_427
; %bb.426:
	v_trunc_f64_e32 v[0:1], v[0:1]
	s_movk_i32 s6, 0xffe0
	v_ldexp_f64 v[2:3], v[0:1], s6
	v_floor_f64_e32 v[2:3], v[2:3]
	v_fmac_f64_e32 v[0:1], 0xc1f00000, v[2:3]
	v_cvt_u32_f64_e32 v0, v[0:1]
	global_store_byte v[4:5], v0, off
.LBB11_427:
	s_mov_b64 s[6:7], -1
.LBB11_428:
	s_andn2_b64 vcc, exec, s[6:7]
	s_cbranch_vccnz .LBB11_430
; %bb.429:
	v_add_u32_e32 v24, 0x80, v24
	s_mov_b64 s[6:7], -1
	s_branch .LBB11_431
.LBB11_430:
	s_mov_b64 s[6:7], 0
                                        ; implicit-def: $vgpr24
.LBB11_431:
	s_andn2_b64 s[8:9], s[66:67], exec
	s_and_b64 s[4:5], s[4:5], exec
	s_or_b64 s[72:73], s[8:9], s[4:5]
	s_orn2_b64 s[6:7], s[6:7], exec
.LBB11_432:
	s_or_b64 exec, exec, s[70:71]
	s_mov_b64 s[4:5], 0
	s_mov_b64 s[10:11], 0
                                        ; implicit-def: $vgpr6
                                        ; implicit-def: $vgpr4_vgpr5
                                        ; implicit-def: $vgpr0_vgpr1
	s_and_saveexec_b64 s[70:71], s[6:7]
	s_cbranch_execz .LBB11_528
; %bb.433:
	v_cmp_gt_i32_e32 vcc, s74, v24
	s_mov_b64 s[6:7], 0
	s_mov_b64 s[8:9], s[72:73]
                                        ; implicit-def: $vgpr6
                                        ; implicit-def: $vgpr4_vgpr5
                                        ; implicit-def: $vgpr0_vgpr1
	s_and_saveexec_b64 s[74:75], vcc
	s_cbranch_execz .LBB11_527
; %bb.434:
	s_andn2_b64 vcc, exec, s[50:51]
	s_cbranch_vccnz .LBB11_440
; %bb.435:
	s_mov_b32 s24, 0
	s_andn2_b64 vcc, exec, s[60:61]
	v_mov_b32_e32 v2, 0
	v_mov_b32_e32 v22, 0
	s_cbranch_vccnz .LBB11_446
; %bb.436:
	s_add_i32 s77, s77, 1
	s_cmp_eq_u32 s76, 2
	s_cbranch_scc1 .LBB11_441
; %bb.437:
	s_and_b32 s24, s77, 28
	s_mov_b32 s25, 0
	v_mov_b32_e32 v22, 0
	s_mov_b64 s[26:27], s[34:35]
	v_mov_b32_e32 v0, v24
	v_mov_b32_e32 v2, 0
.LBB11_438:                             ; =>This Inner Loop Header: Depth=1
	s_load_dwordx8 s[12:19], s[26:27], 0x4
	s_load_dwordx4 s[20:23], s[26:27], 0x24
	s_load_dwordx8 s[4:11], s[58:59], 0x0
	s_add_u32 s26, s26, 48
	s_addc_u32 s27, s27, 0
	s_waitcnt lgkmcnt(0)
	v_mul_hi_u32 v1, s13, v0
	v_add_u32_e32 v1, v0, v1
	v_lshrrev_b32_e32 v1, s14, v1
	v_mul_lo_u32 v3, v1, s12
	v_mul_hi_u32 v4, s16, v1
	v_sub_u32_e32 v0, v0, v3
	v_add_u32_e32 v3, v1, v4
	v_lshrrev_b32_e32 v3, s17, v3
	v_mul_lo_u32 v5, v3, s15
	v_mul_hi_u32 v6, s19, v3
	v_sub_u32_e32 v1, v1, v5
	v_add_u32_e32 v5, v3, v6
	v_mul_lo_u32 v4, v0, s5
	v_mul_lo_u32 v0, v0, s4
	;; [unrolled: 1-line block ×4, first 2 shown]
	v_lshrrev_b32_e32 v5, s20, v5
	v_add3_u32 v1, v0, v22, v1
	v_add3_u32 v2, v4, v2, v6
	v_mul_lo_u32 v0, v5, s18
	v_mul_hi_u32 v4, s22, v5
	v_sub_u32_e32 v0, v3, v0
	v_add_u32_e32 v3, v5, v4
	v_mul_lo_u32 v4, v0, s8
	v_mul_lo_u32 v6, v0, s9
	v_lshrrev_b32_e32 v0, s23, v3
	s_add_i32 s25, s25, 4
	v_mul_lo_u32 v3, v0, s21
	s_add_u32 s58, s58, 32
	v_sub_u32_e32 v3, v5, v3
	s_addc_u32 s59, s59, 0
	v_mul_lo_u32 v5, v3, s10
	v_mul_lo_u32 v3, v3, s11
	s_cmp_eq_u32 s24, s25
	v_add3_u32 v2, v6, v2, v3
	v_add3_u32 v22, v4, v1, v5
	s_cbranch_scc0 .LBB11_438
; %bb.439:
	v_mov_b32_e32 v23, v2
	s_branch .LBB11_442
.LBB11_440:
	s_mov_b64 s[4:5], -1
                                        ; implicit-def: $vgpr2
                                        ; implicit-def: $vgpr22
	s_branch .LBB11_447
.LBB11_441:
	s_mov_b32 s25, s24
	v_pk_mov_b32 v[22:23], s[24:25], s[24:25] op_sel:[0,1]
                                        ; implicit-def: $vgpr2
	v_mov_b32_e32 v0, v24
.LBB11_442:
	s_and_b32 s8, s77, 3
	s_cmp_eq_u32 s8, 0
	s_cbranch_scc1 .LBB11_446
; %bb.443:
	s_lshl_b32 s4, s24, 3
	s_add_u32 s4, s4, s34
	s_addc_u32 s5, s35, 0
	s_add_u32 s4, s4, 0xc4
	s_addc_u32 s5, s5, 0
	s_mul_i32 s6, s24, 12
	s_add_u32 s6, s34, s6
	s_addc_u32 s7, s35, 0
.LBB11_444:                             ; =>This Inner Loop Header: Depth=1
	s_load_dwordx2 s[10:11], s[6:7], 0x4
	s_load_dword s9, s[6:7], 0xc
	s_load_dwordx2 s[12:13], s[4:5], 0x0
	s_add_u32 s6, s6, 12
	s_addc_u32 s7, s7, 0
	s_waitcnt lgkmcnt(0)
	v_mul_hi_u32 v1, s11, v0
	v_add_u32_e32 v1, v0, v1
	v_lshrrev_b32_e32 v1, s9, v1
	v_mul_lo_u32 v3, v1, s10
	v_mov_b32_e32 v2, v23
	s_add_u32 s4, s4, 8
	v_sub_u32_e32 v4, v0, v3
	s_addc_u32 s5, s5, 0
	s_add_i32 s8, s8, -1
	v_mad_u64_u32 v[2:3], s[10:11], v4, s13, v[2:3]
	v_mad_u64_u32 v[22:23], s[10:11], v4, s12, v[22:23]
	s_cmp_lg_u32 s8, 0
	v_mov_b32_e32 v0, v1
	v_mov_b32_e32 v23, v2
	s_cbranch_scc1 .LBB11_444
; %bb.445:
	v_mov_b32_e32 v2, v23
.LBB11_446:
	s_mov_b64 s[4:5], 0
.LBB11_447:
	s_andn2_b64 vcc, exec, s[4:5]
	s_cbranch_vccnz .LBB11_450
; %bb.448:
	s_waitcnt lgkmcnt(0)
	v_mul_hi_u32 v0, s45, v24
	v_add_u32_e32 v0, v24, v0
	v_lshrrev_b32_e32 v0, s46, v0
	v_mul_lo_u32 v1, v0, s44
	v_sub_u32_e32 v1, v24, v1
	v_mul_lo_u32 v2, v1, s41
	s_andn2_b64 vcc, exec, s[56:57]
	v_mul_lo_u32 v22, v1, s40
	s_cbranch_vccnz .LBB11_450
; %bb.449:
	v_mul_hi_u32 v1, s54, v0
	v_add_u32_e32 v1, v0, v1
	v_lshrrev_b32_e32 v1, s55, v1
	v_mul_lo_u32 v1, v1, s47
	v_sub_u32_e32 v0, v0, v1
	v_mad_u64_u32 v[22:23], s[4:5], v0, s42, v[22:23]
	v_mad_u64_u32 v[2:3], s[4:5], v0, s43, v[2:3]
.LBB11_450:
	s_waitcnt lgkmcnt(0)
	v_mov_b32_e32 v0, s38
	v_mov_b32_e32 v1, s39
	;; [unrolled: 1-line block ×3, first 2 shown]
	s_getpc_b64 s[4:5]
	s_add_u32 s4, s4, _ZN2at6native6invokeIZZZNS0_12_GLOBAL__N_130modified_bessel_k0_kernel_cudaERNS_18TensorIteratorBaseEENKUlvE_clEvENKUlvE_clEvEUldE_j15function_traitsIS7_EEENT1_11result_typeERKT_PrKPcPKT0_PKN3c1010ScalarTypeEi@rel32@lo+4
	s_addc_u32 s5, s5, _ZN2at6native6invokeIZZZNS0_12_GLOBAL__N_130modified_bessel_k0_kernel_cudaERNS_18TensorIteratorBaseEENKUlvE_clEvENKUlvE_clEvEUldE_j15function_traitsIS7_EEENT1_11result_typeERKT_PrKPcPKT0_PKN3c1010ScalarTypeEi@rel32@hi+12
	s_swappc_b64 s[30:31], s[4:5]
	v_mov_b32_e32 v2, s37
	v_add_co_u32_e32 v4, vcc, s36, v22
	v_addc_co_u32_e32 v5, vcc, 0, v2, vcc
	v_and_b32_e32 v6, 0xff, v25
	v_cmp_gt_i16_e32 vcc, 11, v6
	s_cbranch_vccnz .LBB11_524
; %bb.451:
	v_cmp_lt_i16_e32 vcc, 25, v6
	s_mov_b64 s[8:9], -1
	s_mov_b64 s[4:5], s[72:73]
	s_cbranch_vccz .LBB11_484
; %bb.452:
	v_cmp_lt_i16_e32 vcc, 28, v6
	s_mov_b64 s[6:7], -1
	s_mov_b64 s[4:5], s[72:73]
	s_cbranch_vccz .LBB11_468
; %bb.453:
	v_cmp_lt_i16_e32 vcc, 43, v6
	s_mov_b64 s[4:5], s[72:73]
	s_cbranch_vccz .LBB11_464
; %bb.454:
	v_cmp_lt_i16_e32 vcc, 45, v6
	s_mov_b64 s[4:5], s[72:73]
	s_cbranch_vccz .LBB11_458
; %bb.455:
	v_cmp_eq_u16_e32 vcc, 46, v6
	s_mov_b64 s[4:5], -1
	s_cbranch_vccz .LBB11_457
; %bb.456:
	v_cvt_f32_f64_e32 v2, v[0:1]
	v_bfe_u32 v3, v2, 16, 1
	s_movk_i32 s4, 0x7fff
	v_add3_u32 v3, v2, v3, s4
	v_lshrrev_b32_e32 v3, 16, v3
	v_mov_b32_e32 v7, 0x7fc0
	v_cmp_o_f32_e32 vcc, v2, v2
	v_cndmask_b32_e32 v2, v7, v3, vcc
	global_store_dword v[4:5], v2, off
	s_mov_b64 s[4:5], 0
.LBB11_457:
	s_mov_b64 s[6:7], 0
.LBB11_458:
	s_and_b64 vcc, exec, s[6:7]
	s_cbranch_vccz .LBB11_463
; %bb.459:
	v_cmp_eq_u16_e32 vcc, 44, v6
	s_mov_b64 s[4:5], -1
	s_cbranch_vccz .LBB11_463
; %bb.460:
	v_cvt_f32_f64_e32 v2, v[0:1]
	v_bfe_u32 v3, v2, 23, 8
	s_movk_i32 s4, 0xff
	v_cmp_ne_u32_e32 vcc, s4, v3
	v_mov_b32_e32 v7, 0xff
	s_and_saveexec_b64 s[6:7], vcc
; %bb.461:
	s_mov_b32 s4, 0x3fffff
	v_lshrrev_b32_e32 v7, 23, v2
	v_and_b32_e32 v8, 0x400000, v2
	v_and_or_b32 v2, v2, s4, v3
	v_cmp_ne_u32_e32 vcc, 0, v8
	v_cmp_ne_u32_e64 s[4:5], 0, v2
	s_and_b64 s[4:5], vcc, s[4:5]
	v_cndmask_b32_e64 v2, 0, 1, s[4:5]
	v_add_u32_e32 v7, v7, v2
; %bb.462:
	s_or_b64 exec, exec, s[6:7]
	s_mov_b64 s[4:5], 0
	global_store_byte v[4:5], v7, off
.LBB11_463:
	s_mov_b64 s[6:7], 0
.LBB11_464:
	s_and_b64 vcc, exec, s[6:7]
	s_cbranch_vccz .LBB11_467
; %bb.465:
	v_cmp_eq_u16_e32 vcc, 29, v6
	s_mov_b64 s[4:5], -1
	s_cbranch_vccz .LBB11_467
; %bb.466:
	v_trunc_f64_e32 v[2:3], v[0:1]
	s_movk_i32 s4, 0xffe0
	v_ldexp_f64 v[8:9], v[2:3], s4
	v_floor_f64_e32 v[8:9], v[8:9]
	v_fmac_f64_e32 v[2:3], 0xc1f00000, v[8:9]
	v_cvt_u32_f64_e32 v11, v[8:9]
	v_cvt_u32_f64_e32 v10, v[2:3]
	global_store_dwordx2 v[4:5], v[10:11], off
	s_mov_b64 s[4:5], 0
.LBB11_467:
	s_mov_b64 s[6:7], 0
.LBB11_468:
	s_and_b64 vcc, exec, s[6:7]
	s_cbranch_vccz .LBB11_483
; %bb.469:
	v_cmp_gt_i16_e32 vcc, 27, v6
	s_mov_b64 s[6:7], -1
	s_cbranch_vccnz .LBB11_475
; %bb.470:
	v_cmp_lt_i16_e32 vcc, 27, v6
	v_cvt_u32_f64_e32 v2, v[0:1]
	s_cbranch_vccz .LBB11_472
; %bb.471:
	s_mov_b64 s[6:7], 0
	global_store_dword v[4:5], v2, off
.LBB11_472:
	s_andn2_b64 vcc, exec, s[6:7]
	s_cbranch_vccnz .LBB11_474
; %bb.473:
	global_store_short v[4:5], v2, off
.LBB11_474:
	s_mov_b64 s[6:7], 0
.LBB11_475:
	s_andn2_b64 vcc, exec, s[6:7]
	s_cbranch_vccnz .LBB11_483
; %bb.476:
	v_cvt_f32_f64_e32 v2, v[0:1]
	v_and_b32_e32 v3, 0x7fffffff, v2
	s_mov_b32 s6, 0x43800000
	v_cmp_gt_u32_e32 vcc, s6, v3
	v_mov_b32_e32 v7, 0x80
	s_and_saveexec_b64 s[6:7], vcc
	s_cbranch_execz .LBB11_482
; %bb.477:
	s_mov_b32 s8, 0x3bffffff
	v_cmp_lt_u32_e32 vcc, s8, v3
	s_mov_b64 s[8:9], 0
                                        ; implicit-def: $vgpr3
	s_and_saveexec_b64 s[10:11], vcc
	s_xor_b64 s[10:11], exec, s[10:11]
	s_cbranch_execz .LBB11_1132
; %bb.478:
	v_bfe_u32 v3, v2, 20, 1
	s_mov_b32 s12, 0x487ffff
	v_add3_u32 v3, v2, v3, s12
	s_mov_b64 s[8:9], exec
	v_lshrrev_b32_e32 v3, 20, v3
	s_or_saveexec_b64 s[10:11], s[10:11]
                                        ; implicit-def: $sgpr12
	s_xor_b64 exec, exec, s[10:11]
	s_cbranch_execnz .LBB11_1133
.LBB11_479:
	s_or_b64 exec, exec, s[10:11]
	v_mov_b32_e32 v7, s12
	s_and_saveexec_b64 s[10:11], s[8:9]
.LBB11_480:
	v_lshrrev_b32_e32 v2, 24, v2
	s_movk_i32 s8, 0x80
	v_and_or_b32 v7, v2, s8, v3
.LBB11_481:
	s_or_b64 exec, exec, s[10:11]
.LBB11_482:
	s_or_b64 exec, exec, s[6:7]
	global_store_byte v[4:5], v7, off
.LBB11_483:
	s_mov_b64 s[8:9], 0
.LBB11_484:
	s_mov_b64 s[6:7], 0
	s_and_b64 vcc, exec, s[8:9]
	s_cbranch_vccz .LBB11_525
; %bb.485:
	v_cmp_lt_i16_e32 vcc, 22, v6
	s_mov_b64 s[8:9], -1
	s_cbranch_vccz .LBB11_517
; %bb.486:
	v_cmp_gt_i16_e32 vcc, 24, v6
	s_cbranch_vccnz .LBB11_506
; %bb.487:
	v_cmp_lt_i16_e32 vcc, 24, v6
	s_cbranch_vccz .LBB11_495
; %bb.488:
	v_cvt_f32_f64_e32 v2, v[0:1]
	v_and_b32_e32 v3, 0x7fffffff, v2
	s_mov_b32 s8, 0x47800000
	v_cmp_gt_u32_e32 vcc, s8, v3
	v_mov_b32_e32 v7, 0x80
	s_and_saveexec_b64 s[8:9], vcc
	s_cbranch_execz .LBB11_494
; %bb.489:
	s_mov_b32 s10, 0x37ffffff
	v_cmp_lt_u32_e32 vcc, s10, v3
	s_mov_b64 s[10:11], 0
                                        ; implicit-def: $vgpr3
	s_and_saveexec_b64 s[12:13], vcc
	s_xor_b64 s[12:13], exec, s[12:13]
	s_cbranch_execz .LBB11_1136
; %bb.490:
	v_bfe_u32 v3, v2, 21, 1
	s_mov_b32 s14, 0x88fffff
	v_add3_u32 v3, v2, v3, s14
	s_mov_b64 s[10:11], exec
	v_lshrrev_b32_e32 v3, 21, v3
	s_or_saveexec_b64 s[12:13], s[12:13]
                                        ; implicit-def: $sgpr14
	s_xor_b64 exec, exec, s[12:13]
	s_cbranch_execnz .LBB11_1137
.LBB11_491:
	s_or_b64 exec, exec, s[12:13]
	v_mov_b32_e32 v7, s14
	s_and_saveexec_b64 s[12:13], s[10:11]
.LBB11_492:
	v_lshrrev_b32_e32 v2, 24, v2
	s_movk_i32 s10, 0x80
	v_and_or_b32 v7, v2, s10, v3
.LBB11_493:
	s_or_b64 exec, exec, s[12:13]
.LBB11_494:
	s_or_b64 exec, exec, s[8:9]
	s_mov_b64 s[8:9], 0
	global_store_byte v[4:5], v7, off
.LBB11_495:
	s_and_b64 vcc, exec, s[8:9]
	s_cbranch_vccz .LBB11_505
; %bb.496:
	v_cvt_f32_f64_e32 v2, v[0:1]
	v_and_b32_e32 v7, 0x7fffffff, v2
	s_mov_b32 s8, 0x43f00000
	v_cmp_gt_u32_e32 vcc, s8, v7
                                        ; implicit-def: $vgpr3
	s_and_saveexec_b64 s[8:9], vcc
	s_xor_b64 s[8:9], exec, s[8:9]
	s_cbranch_execz .LBB11_502
; %bb.497:
	s_mov_b32 s10, 0x3c7fffff
	v_cmp_lt_u32_e32 vcc, s10, v7
                                        ; implicit-def: $vgpr3
	s_and_saveexec_b64 s[10:11], vcc
	s_xor_b64 s[10:11], exec, s[10:11]
; %bb.498:
	v_bfe_u32 v3, v2, 20, 1
	s_mov_b32 s12, 0x407ffff
	v_add3_u32 v3, v2, v3, s12
	v_lshrrev_b32_e32 v7, 20, v3
	v_and_b32_e32 v3, 0xff00000, v3
	s_mov_b32 s12, 0x7f00000
	v_mov_b32_e32 v8, 0x7e
	v_cmp_ne_u32_e32 vcc, s12, v3
	v_cndmask_b32_e32 v3, v8, v7, vcc
; %bb.499:
	s_andn2_saveexec_b64 s[10:11], s[10:11]
; %bb.500:
	s_mov_b32 s12, 0x46800000
	v_add_f32_e64 v3, |v2|, s12
; %bb.501:
	s_or_b64 exec, exec, s[10:11]
                                        ; implicit-def: $vgpr7
.LBB11_502:
	s_andn2_saveexec_b64 s[8:9], s[8:9]
; %bb.503:
	s_mov_b32 s10, 0x7f800000
	v_mov_b32_e32 v3, 0x7e
	v_mov_b32_e32 v8, 0x7f
	v_cmp_lt_u32_e32 vcc, s10, v7
	v_cndmask_b32_e32 v3, v3, v8, vcc
; %bb.504:
	s_or_b64 exec, exec, s[8:9]
	v_lshrrev_b32_e32 v2, 24, v2
	s_movk_i32 s8, 0x80
	v_and_or_b32 v2, v2, s8, v3
	global_store_byte v[4:5], v2, off
.LBB11_505:
	s_mov_b64 s[8:9], 0
.LBB11_506:
	s_andn2_b64 vcc, exec, s[8:9]
	s_cbranch_vccnz .LBB11_516
; %bb.507:
	v_cvt_f32_f64_e32 v2, v[0:1]
	v_and_b32_e32 v7, 0x7fffffff, v2
	s_mov_b32 s8, 0x47800000
	v_cmp_gt_u32_e32 vcc, s8, v7
                                        ; implicit-def: $vgpr3
	s_and_saveexec_b64 s[8:9], vcc
	s_xor_b64 s[8:9], exec, s[8:9]
	s_cbranch_execz .LBB11_513
; %bb.508:
	s_mov_b32 s10, 0x387fffff
	v_cmp_lt_u32_e32 vcc, s10, v7
                                        ; implicit-def: $vgpr3
	s_and_saveexec_b64 s[10:11], vcc
	s_xor_b64 s[10:11], exec, s[10:11]
; %bb.509:
	v_bfe_u32 v3, v2, 21, 1
	s_mov_b32 s12, 0x80fffff
	v_add3_u32 v3, v2, v3, s12
	v_lshrrev_b32_e32 v3, 21, v3
; %bb.510:
	s_andn2_saveexec_b64 s[10:11], s[10:11]
; %bb.511:
	s_mov_b32 s12, 0x43000000
	v_add_f32_e64 v3, |v2|, s12
; %bb.512:
	s_or_b64 exec, exec, s[10:11]
                                        ; implicit-def: $vgpr7
.LBB11_513:
	s_andn2_saveexec_b64 s[8:9], s[8:9]
; %bb.514:
	s_mov_b32 s10, 0x7f800000
	v_mov_b32_e32 v3, 0x7c
	v_mov_b32_e32 v8, 0x7f
	v_cmp_lt_u32_e32 vcc, s10, v7
	v_cndmask_b32_e32 v3, v3, v8, vcc
; %bb.515:
	s_or_b64 exec, exec, s[8:9]
	v_lshrrev_b32_e32 v2, 24, v2
	s_movk_i32 s8, 0x80
	v_and_or_b32 v2, v2, s8, v3
	global_store_byte v[4:5], v2, off
.LBB11_516:
	s_mov_b64 s[8:9], 0
.LBB11_517:
	s_andn2_b64 vcc, exec, s[8:9]
	s_mov_b64 s[8:9], 0
	s_cbranch_vccnz .LBB11_526
; %bb.518:
	v_cmp_lt_i16_e32 vcc, 14, v6
	s_mov_b64 s[10:11], -1
	s_cbranch_vccz .LBB11_522
; %bb.519:
	v_cmp_eq_u16_e32 vcc, 15, v6
	s_mov_b64 s[4:5], -1
	s_cbranch_vccz .LBB11_521
; %bb.520:
	v_cvt_f32_f64_e32 v2, v[0:1]
	v_bfe_u32 v3, v2, 16, 1
	s_movk_i32 s4, 0x7fff
	v_add3_u32 v3, v2, v3, s4
	v_lshrrev_b32_e32 v3, 16, v3
	v_mov_b32_e32 v7, 0x7fc0
	v_cmp_o_f32_e32 vcc, v2, v2
	v_cndmask_b32_e32 v2, v7, v3, vcc
	global_store_short v[4:5], v2, off
	s_mov_b64 s[4:5], 0
.LBB11_521:
	s_mov_b64 s[10:11], 0
.LBB11_522:
	s_and_b64 vcc, exec, s[10:11]
	s_cbranch_vccz .LBB11_526
; %bb.523:
	v_cmp_ne_u16_e32 vcc, 11, v6
	s_andn2_b64 s[4:5], s[4:5], exec
	s_and_b64 s[10:11], vcc, exec
	s_mov_b64 s[8:9], -1
	s_or_b64 s[4:5], s[4:5], s[10:11]
	s_branch .LBB11_526
.LBB11_524:
	s_mov_b64 s[8:9], 0
	s_mov_b64 s[6:7], -1
	s_mov_b64 s[4:5], s[72:73]
	s_branch .LBB11_526
.LBB11_525:
	s_mov_b64 s[8:9], 0
.LBB11_526:
	s_and_b64 s[10:11], s[6:7], exec
	s_and_b64 s[6:7], s[8:9], exec
	s_andn2_b64 s[8:9], s[72:73], exec
	s_and_b64 s[4:5], s[4:5], exec
	s_or_b64 s[8:9], s[8:9], s[4:5]
.LBB11_527:
	s_or_b64 exec, exec, s[74:75]
	s_and_b64 s[4:5], s[6:7], exec
	s_andn2_b64 s[6:7], s[72:73], exec
	s_and_b64 s[8:9], s[8:9], exec
	s_and_b64 s[10:11], s[10:11], exec
	s_or_b64 s[72:73], s[6:7], s[8:9]
.LBB11_528:
	s_or_b64 exec, exec, s[70:71]
	s_and_b64 s[6:7], s[10:11], exec
	s_andn2_b64 s[8:9], s[66:67], exec
	s_and_b64 s[10:11], s[72:73], exec
	s_and_b64 s[4:5], s[4:5], exec
	s_or_b64 s[66:67], s[8:9], s[10:11]
.LBB11_529:
	s_or_b64 exec, exec, s[68:69]
	s_and_b64 s[68:69], s[4:5], exec
	s_andn2_b64 s[4:5], s[62:63], exec
	s_and_b64 s[8:9], s[66:67], exec
	s_and_b64 s[6:7], s[6:7], exec
	s_or_b64 s[62:63], s[4:5], s[8:9]
	s_or_b64 exec, exec, s[64:65]
	s_mov_b64 s[4:5], 0
	s_and_saveexec_b64 s[8:9], s[62:63]
	s_cbranch_execz .LBB11_148
.LBB11_530:
	s_mov_b64 s[4:5], exec
	s_andn2_b64 s[68:69], s[68:69], exec
	s_trap 2
	s_or_b64 exec, exec, s[8:9]
	s_and_saveexec_b64 s[8:9], s[68:69]
	s_xor_b64 s[8:9], exec, s[8:9]
	s_cbranch_execnz .LBB11_149
.LBB11_531:
	s_or_b64 exec, exec, s[8:9]
	s_and_saveexec_b64 s[8:9], s[6:7]
	s_xor_b64 s[6:7], exec, s[8:9]
	s_cbranch_execz .LBB11_569
.LBB11_532:
	v_cmp_gt_i16_e32 vcc, 5, v6
	s_mov_b64 s[8:9], -1
	s_cbranch_vccnz .LBB11_553
; %bb.533:
	v_cmp_gt_i16_e32 vcc, 8, v6
	s_cbranch_vccnz .LBB11_543
; %bb.534:
	v_cmp_gt_i16_e32 vcc, 9, v6
	s_cbranch_vccnz .LBB11_540
; %bb.535:
	v_cmp_lt_i16_e32 vcc, 9, v6
	s_cbranch_vccz .LBB11_537
; %bb.536:
	v_mov_b32_e32 v2, 0
	v_mov_b32_e32 v3, v2
	s_mov_b64 s[8:9], 0
	global_store_dwordx4 v[4:5], v[0:3], off
.LBB11_537:
	s_andn2_b64 vcc, exec, s[8:9]
	s_cbranch_vccnz .LBB11_539
; %bb.538:
	v_cvt_f32_f64_e32 v2, v[0:1]
	v_mov_b32_e32 v3, 0
	global_store_dwordx2 v[4:5], v[2:3], off
.LBB11_539:
	s_mov_b64 s[8:9], 0
.LBB11_540:
	s_andn2_b64 vcc, exec, s[8:9]
	s_cbranch_vccnz .LBB11_542
; %bb.541:
	v_cvt_f32_f64_e32 v2, v[0:1]
	v_cvt_f16_f32_e32 v2, v2
	global_store_dword v[4:5], v2, off
.LBB11_542:
	s_mov_b64 s[8:9], 0
.LBB11_543:
	s_andn2_b64 vcc, exec, s[8:9]
	s_cbranch_vccnz .LBB11_552
; %bb.544:
	v_cmp_gt_i16_e32 vcc, 6, v6
	s_mov_b64 s[8:9], -1
	s_cbranch_vccnz .LBB11_550
; %bb.545:
	v_cmp_lt_i16_e32 vcc, 6, v6
	s_cbranch_vccz .LBB11_547
; %bb.546:
	s_mov_b64 s[8:9], 0
	global_store_dwordx2 v[4:5], v[0:1], off
.LBB11_547:
	s_andn2_b64 vcc, exec, s[8:9]
	s_cbranch_vccnz .LBB11_549
; %bb.548:
	v_cvt_f32_f64_e32 v2, v[0:1]
	global_store_dword v[4:5], v2, off
.LBB11_549:
	s_mov_b64 s[8:9], 0
.LBB11_550:
	s_andn2_b64 vcc, exec, s[8:9]
	s_cbranch_vccnz .LBB11_552
; %bb.551:
	v_cvt_f32_f64_e32 v2, v[0:1]
	v_cvt_f16_f32_e32 v2, v2
	global_store_short v[4:5], v2, off
.LBB11_552:
	s_mov_b64 s[8:9], 0
.LBB11_553:
	s_andn2_b64 vcc, exec, s[8:9]
	s_cbranch_vccnz .LBB11_569
; %bb.554:
	v_cmp_gt_i16_e32 vcc, 2, v6
	s_mov_b64 s[8:9], -1
	s_cbranch_vccnz .LBB11_564
; %bb.555:
	v_cmp_gt_i16_e32 vcc, 3, v6
	s_cbranch_vccnz .LBB11_561
; %bb.556:
	v_cmp_lt_i16_e32 vcc, 3, v6
	s_cbranch_vccz .LBB11_558
; %bb.557:
	v_trunc_f64_e32 v[2:3], v[0:1]
	s_movk_i32 s8, 0xffe0
	v_ldexp_f64 v[8:9], v[2:3], s8
	v_floor_f64_e32 v[8:9], v[8:9]
	v_fmac_f64_e32 v[2:3], 0xc1f00000, v[8:9]
	v_cvt_i32_f64_e32 v11, v[8:9]
	v_cvt_u32_f64_e32 v10, v[2:3]
	s_mov_b64 s[8:9], 0
	global_store_dwordx2 v[4:5], v[10:11], off
.LBB11_558:
	s_andn2_b64 vcc, exec, s[8:9]
	s_cbranch_vccnz .LBB11_560
; %bb.559:
	v_cvt_i32_f64_e32 v2, v[0:1]
	global_store_dword v[4:5], v2, off
.LBB11_560:
	s_mov_b64 s[8:9], 0
.LBB11_561:
	s_andn2_b64 vcc, exec, s[8:9]
	s_cbranch_vccnz .LBB11_563
; %bb.562:
	v_cvt_i32_f64_e32 v2, v[0:1]
	global_store_short v[4:5], v2, off
.LBB11_563:
	s_mov_b64 s[8:9], 0
.LBB11_564:
	s_andn2_b64 vcc, exec, s[8:9]
	s_cbranch_vccnz .LBB11_569
; %bb.565:
	v_cmp_lt_i16_e32 vcc, 0, v6
	s_mov_b64 s[8:9], -1
	s_cbranch_vccz .LBB11_567
; %bb.566:
	v_cvt_i32_f64_e32 v2, v[0:1]
	s_mov_b64 s[8:9], 0
	global_store_byte v[4:5], v2, off
.LBB11_567:
	s_andn2_b64 vcc, exec, s[8:9]
	s_cbranch_vccnz .LBB11_569
; %bb.568:
	v_trunc_f64_e32 v[0:1], v[0:1]
	s_movk_i32 s8, 0xffe0
	v_ldexp_f64 v[2:3], v[0:1], s8
	v_floor_f64_e32 v[2:3], v[2:3]
	v_fmac_f64_e32 v[0:1], 0xc1f00000, v[2:3]
	v_cvt_u32_f64_e32 v0, v[0:1]
	global_store_byte v[4:5], v0, off
.LBB11_569:
	s_or_b64 exec, exec, s[6:7]
	s_waitcnt lgkmcnt(0)
	s_and_b64 s[40:41], s[4:5], exec
                                        ; implicit-def: $vgpr6
                                        ; implicit-def: $vgpr24
.LBB11_570:
	s_or_saveexec_b64 s[42:43], s[52:53]
	s_mov_b64 s[4:5], 0
                                        ; implicit-def: $vgpr7
                                        ; implicit-def: $vgpr4_vgpr5
                                        ; implicit-def: $vgpr0_vgpr1
	s_xor_b64 exec, exec, s[42:43]
	s_cbranch_execz .LBB11_1077
; %bb.571:
	v_cndmask_b32_e64 v0, 0, 1, s[50:51]
	v_cmp_ne_u32_e64 s[4:5], 1, v0
	s_andn2_b64 vcc, exec, s[50:51]
	s_cbranch_vccnz .LBB11_578
; %bb.572:
	s_mov_b32 s6, 0
	s_cmp_lg_u32 s33, 0
	v_mov_b32_e32 v2, 0
	v_mov_b32_e32 v38, 0
	s_cbranch_scc0 .LBB11_577
; %bb.573:
	s_min_u32 s38, s76, 15
	s_add_i32 s38, s38, 1
	s_cmp_eq_u32 s76, 2
	s_cbranch_scc1 .LBB11_579
; %bb.574:
	s_add_u32 s30, s34, 0xc4
	s_addc_u32 s31, s35, 0
	s_and_b32 s6, s38, 28
	s_mov_b32 s7, 0
	v_mov_b32_e32 v38, 0
	s_mov_b64 s[36:37], s[34:35]
	v_mov_b32_e32 v0, v24
	v_mov_b32_e32 v2, 0
.LBB11_575:                             ; =>This Inner Loop Header: Depth=1
	s_load_dwordx8 s[16:23], s[36:37], 0x4
	s_load_dwordx4 s[24:27], s[36:37], 0x24
	s_load_dwordx8 s[8:15], s[30:31], 0x0
	s_add_u32 s36, s36, 48
	s_addc_u32 s37, s37, 0
	s_waitcnt lgkmcnt(0)
	v_mul_hi_u32 v1, s17, v0
	v_add_u32_e32 v1, v0, v1
	v_lshrrev_b32_e32 v1, s18, v1
	v_mul_lo_u32 v3, v1, s16
	v_mul_hi_u32 v4, s20, v1
	v_sub_u32_e32 v0, v0, v3
	v_add_u32_e32 v3, v1, v4
	v_lshrrev_b32_e32 v3, s21, v3
	v_mul_lo_u32 v5, v3, s19
	v_mul_hi_u32 v7, s23, v3
	v_sub_u32_e32 v1, v1, v5
	v_add_u32_e32 v5, v3, v7
	v_mul_lo_u32 v4, v0, s9
	v_mul_lo_u32 v0, v0, s8
	;; [unrolled: 1-line block ×4, first 2 shown]
	v_lshrrev_b32_e32 v5, s24, v5
	v_add3_u32 v1, v0, v38, v1
	v_add3_u32 v2, v4, v2, v7
	v_mul_lo_u32 v0, v5, s22
	v_mul_hi_u32 v4, s26, v5
	v_sub_u32_e32 v0, v3, v0
	v_add_u32_e32 v3, v5, v4
	v_mul_lo_u32 v4, v0, s12
	v_mul_lo_u32 v7, v0, s13
	v_lshrrev_b32_e32 v0, s27, v3
	s_add_i32 s7, s7, 4
	v_mul_lo_u32 v3, v0, s25
	s_add_u32 s30, s30, 32
	v_sub_u32_e32 v3, v5, v3
	s_addc_u32 s31, s31, 0
	v_mul_lo_u32 v5, v3, s14
	v_mul_lo_u32 v3, v3, s15
	s_cmp_lg_u32 s6, s7
	v_add3_u32 v2, v7, v2, v3
	v_add3_u32 v38, v4, v1, v5
	s_cbranch_scc1 .LBB11_575
; %bb.576:
	v_mov_b32_e32 v39, v2
	s_and_b32 s10, s38, 3
	s_cmp_eq_u32 s10, 0
	s_cbranch_scc0 .LBB11_580
.LBB11_577:
	s_cbranch_execz .LBB11_583
	s_branch .LBB11_585
.LBB11_578:
                                        ; implicit-def: $vgpr2
                                        ; implicit-def: $vgpr38
	s_branch .LBB11_583
.LBB11_579:
	s_mov_b32 s7, s6
	v_pk_mov_b32 v[38:39], s[6:7], s[6:7] op_sel:[0,1]
                                        ; implicit-def: $vgpr2
	v_mov_b32_e32 v0, v24
	s_and_b32 s10, s38, 3
	s_cmp_eq_u32 s10, 0
	s_cbranch_scc1 .LBB11_577
.LBB11_580:
	s_lshl_b32 s7, s6, 3
	s_add_u32 s7, s7, s34
	s_addc_u32 s9, 0, s35
	s_add_u32 s8, s7, 0xc4
	s_addc_u32 s9, s9, 0
	s_mul_i32 s6, s6, 12
	s_add_u32 s6, s34, s6
	s_addc_u32 s7, 0, s35
.LBB11_581:                             ; =>This Inner Loop Header: Depth=1
	s_load_dwordx2 s[12:13], s[6:7], 0x4
	s_load_dword s11, s[6:7], 0xc
	s_load_dwordx2 s[14:15], s[8:9], 0x0
	s_add_u32 s6, s6, 12
	s_addc_u32 s7, s7, 0
	s_waitcnt lgkmcnt(0)
	v_mul_hi_u32 v1, s13, v0
	v_add_u32_e32 v1, v0, v1
	v_lshrrev_b32_e32 v1, s11, v1
	v_mul_lo_u32 v3, v1, s12
	v_mov_b32_e32 v2, v39
	s_add_u32 s8, s8, 8
	v_sub_u32_e32 v4, v0, v3
	s_addc_u32 s9, s9, 0
	s_add_i32 s10, s10, -1
	v_mad_u64_u32 v[2:3], s[12:13], v4, s15, v[2:3]
	v_mad_u64_u32 v[38:39], s[12:13], v4, s14, v[38:39]
	s_cmp_lg_u32 s10, 0
	v_mov_b32_e32 v0, v1
	v_mov_b32_e32 v39, v2
	s_cbranch_scc1 .LBB11_581
; %bb.582:
	v_mov_b32_e32 v2, v39
	s_cbranch_execnz .LBB11_585
.LBB11_583:
	s_load_dwordx4 s[8:11], s[34:35], 0x4
	s_load_dwordx2 s[6:7], s[34:35], 0xc4
	s_cmp_lt_u32 s33, 2
	s_waitcnt lgkmcnt(0)
	v_mul_hi_u32 v0, s9, v24
	v_add_u32_e32 v0, v24, v0
	v_lshrrev_b32_e32 v0, s10, v0
	v_mul_lo_u32 v1, v0, s8
	v_sub_u32_e32 v1, v24, v1
	v_mul_lo_u32 v2, v1, s7
	v_mul_lo_u32 v38, v1, s6
	s_cbranch_scc1 .LBB11_585
; %bb.584:
	s_load_dwordx4 s[8:11], s[34:35], 0x10
	s_load_dwordx2 s[6:7], s[34:35], 0xcc
	s_waitcnt lgkmcnt(0)
	v_mul_hi_u32 v1, s9, v0
	v_add_u32_e32 v1, v0, v1
	v_lshrrev_b32_e32 v1, s10, v1
	v_mul_lo_u32 v1, v1, s8
	v_sub_u32_e32 v0, v0, v1
	v_mad_u64_u32 v[38:39], s[8:9], v0, s6, v[38:39]
	v_mad_u64_u32 v[2:3], s[6:7], v0, s7, v[2:3]
.LBB11_585:
	s_and_b64 vcc, exec, s[4:5]
	v_add_u32_e32 v0, 0x80, v24
	s_cbranch_vccnz .LBB11_592
; %bb.586:
	s_mov_b32 s6, 0
	s_cmp_lg_u32 s33, 0
	v_mov_b32_e32 v22, 0
	v_mov_b32_e32 v36, 0
	s_cbranch_scc0 .LBB11_591
; %bb.587:
	s_min_u32 s38, s76, 15
	s_add_i32 s38, s38, 1
	s_cmp_eq_u32 s76, 2
	s_cbranch_scc1 .LBB11_593
; %bb.588:
	s_add_u32 s30, s34, 0xc4
	s_addc_u32 s31, s35, 0
	s_and_b32 s6, s38, 28
	s_mov_b32 s7, 0
	v_mov_b32_e32 v36, 0
	s_mov_b64 s[36:37], s[34:35]
	v_mov_b32_e32 v1, v0
	v_mov_b32_e32 v22, 0
.LBB11_589:                             ; =>This Inner Loop Header: Depth=1
	s_load_dwordx8 s[16:23], s[36:37], 0x4
	s_load_dwordx4 s[24:27], s[36:37], 0x24
	s_load_dwordx8 s[8:15], s[30:31], 0x0
	s_add_u32 s36, s36, 48
	s_addc_u32 s37, s37, 0
	s_waitcnt lgkmcnt(0)
	v_mul_hi_u32 v3, s17, v1
	v_add_u32_e32 v3, v1, v3
	v_lshrrev_b32_e32 v3, s18, v3
	v_mul_lo_u32 v4, v3, s16
	v_mul_hi_u32 v5, s20, v3
	v_sub_u32_e32 v1, v1, v4
	v_add_u32_e32 v4, v3, v5
	v_lshrrev_b32_e32 v4, s21, v4
	v_mul_lo_u32 v7, v4, s19
	v_mul_hi_u32 v8, s23, v4
	v_sub_u32_e32 v3, v3, v7
	v_add_u32_e32 v7, v4, v8
	v_mul_lo_u32 v5, v1, s9
	v_mul_lo_u32 v1, v1, s8
	;; [unrolled: 1-line block ×4, first 2 shown]
	v_lshrrev_b32_e32 v7, s24, v7
	v_add3_u32 v3, v1, v36, v3
	v_add3_u32 v5, v5, v22, v8
	v_mul_lo_u32 v1, v7, s22
	v_mul_hi_u32 v8, s26, v7
	v_sub_u32_e32 v1, v4, v1
	v_add_u32_e32 v4, v7, v8
	v_mul_lo_u32 v8, v1, s12
	v_mul_lo_u32 v9, v1, s13
	v_lshrrev_b32_e32 v1, s27, v4
	s_add_i32 s7, s7, 4
	v_mul_lo_u32 v4, v1, s25
	s_add_u32 s30, s30, 32
	v_sub_u32_e32 v4, v7, v4
	s_addc_u32 s31, s31, 0
	v_mul_lo_u32 v7, v4, s14
	v_mul_lo_u32 v4, v4, s15
	s_cmp_lg_u32 s6, s7
	v_add3_u32 v22, v9, v5, v4
	v_add3_u32 v36, v8, v3, v7
	s_cbranch_scc1 .LBB11_589
; %bb.590:
	v_mov_b32_e32 v37, v22
	s_and_b32 s10, s38, 3
	s_cmp_eq_u32 s10, 0
	s_cbranch_scc0 .LBB11_594
.LBB11_591:
	s_cbranch_execz .LBB11_597
	s_branch .LBB11_599
.LBB11_592:
                                        ; implicit-def: $vgpr22
                                        ; implicit-def: $vgpr36
	s_branch .LBB11_597
.LBB11_593:
	s_mov_b32 s7, s6
	v_pk_mov_b32 v[36:37], s[6:7], s[6:7] op_sel:[0,1]
                                        ; implicit-def: $vgpr22
	v_mov_b32_e32 v1, v0
	s_and_b32 s10, s38, 3
	s_cmp_eq_u32 s10, 0
	s_cbranch_scc1 .LBB11_591
.LBB11_594:
	s_lshl_b32 s7, s6, 3
	s_add_u32 s7, s7, s34
	s_addc_u32 s9, 0, s35
	s_add_u32 s8, s7, 0xc4
	s_addc_u32 s9, s9, 0
	s_mul_i32 s6, s6, 12
	s_add_u32 s6, s34, s6
	s_addc_u32 s7, 0, s35
.LBB11_595:                             ; =>This Inner Loop Header: Depth=1
	s_load_dwordx2 s[12:13], s[6:7], 0x4
	s_load_dword s11, s[6:7], 0xc
	s_load_dwordx2 s[14:15], s[8:9], 0x0
	s_add_u32 s6, s6, 12
	s_addc_u32 s7, s7, 0
	s_waitcnt lgkmcnt(0)
	v_mul_hi_u32 v3, s13, v1
	v_add_u32_e32 v3, v1, v3
	v_lshrrev_b32_e32 v3, s11, v3
	v_mul_lo_u32 v5, v3, s12
	v_mov_b32_e32 v4, v37
	s_add_u32 s8, s8, 8
	v_sub_u32_e32 v7, v1, v5
	s_addc_u32 s9, s9, 0
	s_add_i32 s10, s10, -1
	v_mad_u64_u32 v[4:5], s[12:13], v7, s15, v[4:5]
	v_mad_u64_u32 v[36:37], s[12:13], v7, s14, v[36:37]
	s_cmp_lg_u32 s10, 0
	v_mov_b32_e32 v1, v3
	v_mov_b32_e32 v37, v4
	s_cbranch_scc1 .LBB11_595
; %bb.596:
	v_mov_b32_e32 v22, v37
	s_cbranch_execnz .LBB11_599
.LBB11_597:
	s_load_dwordx4 s[8:11], s[34:35], 0x4
	s_load_dwordx2 s[6:7], s[34:35], 0xc4
	s_cmp_lt_u32 s33, 2
	s_waitcnt lgkmcnt(0)
	v_mul_hi_u32 v1, s9, v0
	v_add_u32_e32 v1, v0, v1
	v_lshrrev_b32_e32 v1, s10, v1
	v_mul_lo_u32 v3, v1, s8
	v_sub_u32_e32 v0, v0, v3
	v_mul_lo_u32 v22, v0, s7
	v_mul_lo_u32 v36, v0, s6
	s_cbranch_scc1 .LBB11_599
; %bb.598:
	s_load_dwordx4 s[8:11], s[34:35], 0x10
	s_load_dwordx2 s[6:7], s[34:35], 0xcc
	s_waitcnt lgkmcnt(0)
	v_mul_hi_u32 v0, s9, v1
	v_add_u32_e32 v0, v1, v0
	v_lshrrev_b32_e32 v0, s10, v0
	v_mul_lo_u32 v0, v0, s8
	v_sub_u32_e32 v0, v1, v0
	v_mad_u64_u32 v[36:37], s[8:9], v0, s6, v[36:37]
	v_mad_u64_u32 v[22:23], s[6:7], v0, s7, v[22:23]
.LBB11_599:
	s_and_b64 vcc, exec, s[4:5]
	v_add_u32_e32 v0, 0x100, v24
	s_cbranch_vccnz .LBB11_606
; %bb.600:
	s_mov_b32 s6, 0
	s_cmp_lg_u32 s33, 0
	v_mov_b32_e32 v28, 0
	v_mov_b32_e32 v34, 0
	s_cbranch_scc0 .LBB11_605
; %bb.601:
	s_min_u32 s38, s76, 15
	s_add_i32 s38, s38, 1
	s_cmp_eq_u32 s76, 2
	s_cbranch_scc1 .LBB11_607
; %bb.602:
	s_add_u32 s30, s34, 0xc4
	s_addc_u32 s31, s35, 0
	s_and_b32 s6, s38, 28
	s_mov_b32 s7, 0
	v_mov_b32_e32 v34, 0
	s_mov_b64 s[36:37], s[34:35]
	v_mov_b32_e32 v1, v0
	v_mov_b32_e32 v28, 0
.LBB11_603:                             ; =>This Inner Loop Header: Depth=1
	s_load_dwordx8 s[16:23], s[36:37], 0x4
	s_load_dwordx4 s[24:27], s[36:37], 0x24
	s_load_dwordx8 s[8:15], s[30:31], 0x0
	s_add_u32 s36, s36, 48
	s_addc_u32 s37, s37, 0
	s_waitcnt lgkmcnt(0)
	v_mul_hi_u32 v3, s17, v1
	v_add_u32_e32 v3, v1, v3
	v_lshrrev_b32_e32 v3, s18, v3
	v_mul_lo_u32 v4, v3, s16
	v_mul_hi_u32 v5, s20, v3
	v_sub_u32_e32 v1, v1, v4
	v_add_u32_e32 v4, v3, v5
	v_lshrrev_b32_e32 v4, s21, v4
	v_mul_lo_u32 v7, v4, s19
	v_mul_hi_u32 v8, s23, v4
	v_sub_u32_e32 v3, v3, v7
	v_add_u32_e32 v7, v4, v8
	v_mul_lo_u32 v5, v1, s9
	v_mul_lo_u32 v1, v1, s8
	;; [unrolled: 1-line block ×4, first 2 shown]
	v_lshrrev_b32_e32 v7, s24, v7
	v_add3_u32 v3, v1, v34, v3
	v_add3_u32 v5, v5, v28, v8
	v_mul_lo_u32 v1, v7, s22
	v_mul_hi_u32 v8, s26, v7
	v_sub_u32_e32 v1, v4, v1
	v_add_u32_e32 v4, v7, v8
	v_mul_lo_u32 v8, v1, s12
	v_mul_lo_u32 v9, v1, s13
	v_lshrrev_b32_e32 v1, s27, v4
	s_add_i32 s7, s7, 4
	v_mul_lo_u32 v4, v1, s25
	s_add_u32 s30, s30, 32
	v_sub_u32_e32 v4, v7, v4
	s_addc_u32 s31, s31, 0
	v_mul_lo_u32 v7, v4, s14
	v_mul_lo_u32 v4, v4, s15
	s_cmp_lg_u32 s6, s7
	v_add3_u32 v28, v9, v5, v4
	v_add3_u32 v34, v8, v3, v7
	s_cbranch_scc1 .LBB11_603
; %bb.604:
	v_mov_b32_e32 v35, v28
	s_and_b32 s10, s38, 3
	s_cmp_eq_u32 s10, 0
	s_cbranch_scc0 .LBB11_608
.LBB11_605:
	s_cbranch_execz .LBB11_611
	s_branch .LBB11_613
.LBB11_606:
                                        ; implicit-def: $vgpr28
                                        ; implicit-def: $vgpr34
	s_branch .LBB11_611
.LBB11_607:
	s_mov_b32 s7, s6
	v_pk_mov_b32 v[34:35], s[6:7], s[6:7] op_sel:[0,1]
                                        ; implicit-def: $vgpr28
	v_mov_b32_e32 v1, v0
	s_and_b32 s10, s38, 3
	s_cmp_eq_u32 s10, 0
	s_cbranch_scc1 .LBB11_605
.LBB11_608:
	s_lshl_b32 s7, s6, 3
	s_add_u32 s7, s7, s34
	s_addc_u32 s9, 0, s35
	s_add_u32 s8, s7, 0xc4
	s_addc_u32 s9, s9, 0
	s_mul_i32 s6, s6, 12
	s_add_u32 s6, s34, s6
	s_addc_u32 s7, 0, s35
.LBB11_609:                             ; =>This Inner Loop Header: Depth=1
	s_load_dwordx2 s[12:13], s[6:7], 0x4
	s_load_dword s11, s[6:7], 0xc
	s_load_dwordx2 s[14:15], s[8:9], 0x0
	s_add_u32 s6, s6, 12
	s_addc_u32 s7, s7, 0
	s_waitcnt lgkmcnt(0)
	v_mul_hi_u32 v3, s13, v1
	v_add_u32_e32 v3, v1, v3
	v_lshrrev_b32_e32 v3, s11, v3
	v_mul_lo_u32 v5, v3, s12
	v_mov_b32_e32 v4, v35
	s_add_u32 s8, s8, 8
	v_sub_u32_e32 v7, v1, v5
	s_addc_u32 s9, s9, 0
	s_add_i32 s10, s10, -1
	v_mad_u64_u32 v[4:5], s[12:13], v7, s15, v[4:5]
	v_mad_u64_u32 v[34:35], s[12:13], v7, s14, v[34:35]
	s_cmp_lg_u32 s10, 0
	v_mov_b32_e32 v1, v3
	v_mov_b32_e32 v35, v4
	s_cbranch_scc1 .LBB11_609
; %bb.610:
	v_mov_b32_e32 v28, v35
	s_cbranch_execnz .LBB11_613
.LBB11_611:
	s_load_dwordx4 s[8:11], s[34:35], 0x4
	s_load_dwordx2 s[6:7], s[34:35], 0xc4
	s_cmp_lt_u32 s33, 2
	s_waitcnt lgkmcnt(0)
	v_mul_hi_u32 v1, s9, v0
	v_add_u32_e32 v1, v0, v1
	v_lshrrev_b32_e32 v1, s10, v1
	v_mul_lo_u32 v3, v1, s8
	v_sub_u32_e32 v0, v0, v3
	v_mul_lo_u32 v28, v0, s7
	v_mul_lo_u32 v34, v0, s6
	s_cbranch_scc1 .LBB11_613
; %bb.612:
	s_load_dwordx4 s[8:11], s[34:35], 0x10
	s_load_dwordx2 s[6:7], s[34:35], 0xcc
	s_waitcnt lgkmcnt(0)
	v_mul_hi_u32 v0, s9, v1
	v_add_u32_e32 v0, v1, v0
	v_lshrrev_b32_e32 v0, s10, v0
	v_mul_lo_u32 v0, v0, s8
	v_sub_u32_e32 v0, v1, v0
	v_mad_u64_u32 v[34:35], s[8:9], v0, s6, v[34:35]
	v_mad_u64_u32 v[28:29], s[6:7], v0, s7, v[28:29]
.LBB11_613:
	s_and_b64 vcc, exec, s[4:5]
	s_cbranch_vccnz .LBB11_620
; %bb.614:
	s_mov_b32 s24, 0
	s_cmp_lg_u32 s33, 0
	v_mov_b32_e32 v30, 0
	v_mov_b32_e32 v32, 0
	s_cbranch_scc0 .LBB11_619
; %bb.615:
	s_min_u32 s36, s76, 15
	s_add_i32 s36, s36, 1
	s_cmp_eq_u32 s76, 2
	s_cbranch_scc1 .LBB11_621
; %bb.616:
	s_add_u32 s26, s34, 0xc4
	s_addc_u32 s27, s35, 0
	s_and_b32 s24, s36, 28
	s_mov_b32 s25, 0
	v_mov_b32_e32 v32, 0
	s_mov_b64 s[30:31], s[34:35]
	v_mov_b32_e32 v0, v6
	v_mov_b32_e32 v30, 0
.LBB11_617:                             ; =>This Inner Loop Header: Depth=1
	s_load_dwordx8 s[12:19], s[30:31], 0x4
	s_load_dwordx4 s[20:23], s[30:31], 0x24
	s_load_dwordx8 s[4:11], s[26:27], 0x0
	s_add_u32 s30, s30, 48
	s_addc_u32 s31, s31, 0
	s_waitcnt lgkmcnt(0)
	v_mul_hi_u32 v1, s13, v0
	v_add_u32_e32 v1, v0, v1
	v_lshrrev_b32_e32 v1, s14, v1
	v_mul_lo_u32 v3, v1, s12
	v_mul_hi_u32 v4, s16, v1
	v_sub_u32_e32 v0, v0, v3
	v_add_u32_e32 v3, v1, v4
	v_lshrrev_b32_e32 v3, s17, v3
	v_mul_lo_u32 v5, v3, s15
	v_mul_hi_u32 v7, s19, v3
	v_sub_u32_e32 v1, v1, v5
	v_add_u32_e32 v5, v3, v7
	v_mul_lo_u32 v4, v0, s5
	v_mul_lo_u32 v0, v0, s4
	;; [unrolled: 1-line block ×4, first 2 shown]
	v_lshrrev_b32_e32 v5, s20, v5
	v_add3_u32 v1, v0, v32, v1
	v_add3_u32 v4, v4, v30, v7
	v_mul_lo_u32 v0, v5, s18
	v_mul_hi_u32 v7, s22, v5
	v_sub_u32_e32 v0, v3, v0
	v_add_u32_e32 v3, v5, v7
	v_mul_lo_u32 v7, v0, s8
	v_mul_lo_u32 v8, v0, s9
	v_lshrrev_b32_e32 v0, s23, v3
	s_add_i32 s25, s25, 4
	v_mul_lo_u32 v3, v0, s21
	s_add_u32 s26, s26, 32
	v_sub_u32_e32 v3, v5, v3
	s_addc_u32 s27, s27, 0
	v_mul_lo_u32 v5, v3, s10
	v_mul_lo_u32 v3, v3, s11
	s_cmp_lg_u32 s24, s25
	v_add3_u32 v30, v8, v4, v3
	v_add3_u32 v32, v7, v1, v5
	s_cbranch_scc1 .LBB11_617
; %bb.618:
	v_mov_b32_e32 v33, v30
	s_and_b32 s8, s36, 3
	s_cmp_eq_u32 s8, 0
	s_cbranch_scc0 .LBB11_622
.LBB11_619:
	s_cbranch_execz .LBB11_625
	s_branch .LBB11_627
.LBB11_620:
                                        ; implicit-def: $vgpr30
                                        ; implicit-def: $vgpr32
	s_branch .LBB11_625
.LBB11_621:
	s_mov_b32 s25, s24
	v_pk_mov_b32 v[32:33], s[24:25], s[24:25] op_sel:[0,1]
                                        ; implicit-def: $vgpr30
	v_mov_b32_e32 v0, v6
	s_and_b32 s8, s36, 3
	s_cmp_eq_u32 s8, 0
	s_cbranch_scc1 .LBB11_619
.LBB11_622:
	s_lshl_b32 s4, s24, 3
	s_add_u32 s4, s4, s34
	s_addc_u32 s5, 0, s35
	s_add_u32 s4, s4, 0xc4
	s_addc_u32 s5, s5, 0
	s_mul_i32 s6, s24, 12
	s_add_u32 s6, s34, s6
	s_addc_u32 s7, 0, s35
.LBB11_623:                             ; =>This Inner Loop Header: Depth=1
	s_load_dwordx2 s[10:11], s[6:7], 0x4
	s_load_dword s9, s[6:7], 0xc
	s_load_dwordx2 s[12:13], s[4:5], 0x0
	s_add_u32 s6, s6, 12
	s_addc_u32 s7, s7, 0
	s_waitcnt lgkmcnt(0)
	v_mul_hi_u32 v1, s11, v0
	v_add_u32_e32 v1, v0, v1
	v_lshrrev_b32_e32 v1, s9, v1
	v_mul_lo_u32 v3, v1, s10
	v_mov_b32_e32 v4, v33
	s_add_u32 s4, s4, 8
	v_sub_u32_e32 v3, v0, v3
	s_addc_u32 s5, s5, 0
	s_add_i32 s8, s8, -1
	v_mad_u64_u32 v[4:5], s[10:11], v3, s13, v[4:5]
	v_mad_u64_u32 v[32:33], s[10:11], v3, s12, v[32:33]
	s_cmp_lg_u32 s8, 0
	v_mov_b32_e32 v0, v1
	v_mov_b32_e32 v33, v4
	s_cbranch_scc1 .LBB11_623
; %bb.624:
	v_mov_b32_e32 v30, v33
	s_cbranch_execnz .LBB11_627
.LBB11_625:
	s_load_dwordx4 s[4:7], s[34:35], 0x4
	s_load_dwordx2 s[8:9], s[34:35], 0xc4
	s_cmp_lt_u32 s33, 2
	s_waitcnt lgkmcnt(0)
	v_mul_hi_u32 v0, s5, v6
	v_add_u32_e32 v0, v6, v0
	v_lshrrev_b32_e32 v0, s6, v0
	v_mul_lo_u32 v1, v0, s4
	v_sub_u32_e32 v1, v6, v1
	v_mul_lo_u32 v30, v1, s9
	v_mul_lo_u32 v32, v1, s8
	s_cbranch_scc1 .LBB11_627
; %bb.626:
	s_load_dwordx4 s[4:7], s[34:35], 0x10
	s_load_dwordx2 s[8:9], s[34:35], 0xcc
	s_waitcnt lgkmcnt(0)
	v_mul_hi_u32 v1, s5, v0
	v_add_u32_e32 v1, v0, v1
	v_lshrrev_b32_e32 v1, s6, v1
	v_mul_lo_u32 v1, v1, s4
	v_sub_u32_e32 v0, v0, v1
	v_mad_u64_u32 v[32:33], s[4:5], v0, s8, v[32:33]
	v_mad_u64_u32 v[30:31], s[4:5], v0, s9, v[30:31]
.LBB11_627:
	s_load_dword s33, s[28:29], 0x160
	s_load_dwordx4 s[36:39], s[34:35], 0x148
	s_getpc_b64 s[28:29]
	s_add_u32 s28, s28, _ZN2at6native6invokeIZZZNS0_12_GLOBAL__N_130modified_bessel_k0_kernel_cudaERNS_18TensorIteratorBaseEENKUlvE_clEvENKUlvE_clEvEUldE_j15function_traitsIS7_EEENT1_11result_typeERKT_PrKPcPKT0_PKN3c1010ScalarTypeEi@rel32@lo+4
	s_addc_u32 s29, s29, _ZN2at6native6invokeIZZZNS0_12_GLOBAL__N_130modified_bessel_k0_kernel_cudaERNS_18TensorIteratorBaseEENKUlvE_clEvENKUlvE_clEvEUldE_j15function_traitsIS7_EEENT1_11result_typeERKT_PrKPcPKT0_PKN3c1010ScalarTypeEi@rel32@hi+12
	s_waitcnt lgkmcnt(0)
	s_lshr_b32 s34, s33, 16
	v_mov_b32_e32 v0, s38
	v_mov_b32_e32 v1, s39
	v_mov_b32_e32 v3, s34
	s_swappc_b64 s[30:31], s[28:29]
	v_mov_b32_e32 v26, v0
	v_mov_b32_e32 v27, v1
	v_mov_b32_e32 v0, s38
	v_mov_b32_e32 v1, s39
	v_mov_b32_e32 v2, v22
	v_mov_b32_e32 v3, s34
	s_swappc_b64 s[30:31], s[28:29]
	v_mov_b32_e32 v24, v0
	v_mov_b32_e32 v25, v1
	v_mov_b32_e32 v0, s38
	;; [unrolled: 7-line block ×3, first 2 shown]
	v_mov_b32_e32 v1, s39
	v_mov_b32_e32 v2, v30
	;; [unrolled: 1-line block ×3, first 2 shown]
	s_swappc_b64 s[30:31], s[28:29]
	v_mov_b32_e32 v3, s37
	v_add_co_u32_e32 v2, vcc, s36, v38
	s_lshr_b32 s16, s33, 8
	v_mov_b32_e32 v4, 11
	v_addc_co_u32_e32 v3, vcc, 0, v3, vcc
	v_cmp_lt_i16_sdwa s[4:5], s16, v4 src0_sel:BYTE_0 src1_sel:DWORD
	s_and_b64 vcc, exec, s[4:5]
	s_cbranch_vccnz .LBB11_634
; %bb.628:
	v_mov_b32_e32 v4, 25
	v_cmp_gt_i16_sdwa s[4:5], s16, v4 src0_sel:BYTE_0 src1_sel:DWORD
	s_mov_b64 s[6:7], -1
	s_mov_b64 s[8:9], 0
	s_and_b64 vcc, exec, s[4:5]
	s_mov_b64 s[10:11], 0
	s_mov_b64 s[4:5], 0
	s_cbranch_vccz .LBB11_664
; %bb.629:
	v_mov_b32_e32 v4, 28
	v_cmp_gt_i16_sdwa s[4:5], s16, v4 src0_sel:BYTE_0 src1_sel:DWORD
	s_and_b64 vcc, exec, s[4:5]
	s_cbranch_vccz .LBB11_636
; %bb.630:
	v_mov_b32_e32 v4, 43
	v_cmp_gt_i16_sdwa s[4:5], s16, v4 src0_sel:BYTE_0 src1_sel:DWORD
	s_and_b64 vcc, exec, s[4:5]
	;; [unrolled: 5-line block ×3, first 2 shown]
	s_cbranch_vccz .LBB11_638
; %bb.632:
	v_mov_b32_e32 v4, 46
	v_cmp_eq_u16_sdwa s[10:11], s16, v4 src0_sel:BYTE_0 src1_sel:DWORD
	s_mov_b64 s[4:5], -1
	s_mov_b64 s[6:7], 0
	s_and_b64 vcc, exec, s[10:11]
	s_mov_b64 s[10:11], 0
	s_cbranch_vccz .LBB11_639
; %bb.633:
	v_cvt_f32_f64_e32 v4, v[26:27]
	v_bfe_u32 v5, v4, 16, 1
	s_movk_i32 s4, 0x7fff
	v_add3_u32 v5, v4, v5, s4
	v_lshrrev_b32_e32 v5, 16, v5
	v_mov_b32_e32 v6, 0x7fc0
	v_cmp_o_f32_e32 vcc, v4, v4
	v_cndmask_b32_e32 v4, v6, v5, vcc
	global_store_dword v[2:3], v4, off
	s_mov_b64 s[4:5], 0
	s_mov_b64 s[10:11], -1
	s_branch .LBB11_639
.LBB11_634:
	s_mov_b64 s[10:11], 0
	s_mov_b64 s[6:7], s[40:41]
	s_cbranch_execnz .LBB11_708
.LBB11_635:
	s_andn2_b64 vcc, exec, s[10:11]
	s_cbranch_vccz .LBB11_746
	s_branch .LBB11_1075
.LBB11_636:
	s_mov_b64 s[4:5], 0
	s_and_b64 vcc, exec, s[6:7]
	s_cbranch_vccz .LBB11_663
	s_branch .LBB11_648
.LBB11_637:
	s_mov_b64 s[4:5], 0
	s_and_b64 vcc, exec, s[6:7]
	s_cbranch_vccnz .LBB11_645
	s_branch .LBB11_647
.LBB11_638:
	s_mov_b64 s[4:5], 0
.LBB11_639:
	s_and_b64 vcc, exec, s[6:7]
	s_cbranch_vccz .LBB11_644
; %bb.640:
	v_mov_b32_e32 v4, 44
	v_cmp_eq_u16_sdwa s[6:7], s16, v4 src0_sel:BYTE_0 src1_sel:DWORD
	s_mov_b64 s[4:5], -1
	s_and_b64 vcc, exec, s[6:7]
	s_cbranch_vccz .LBB11_644
; %bb.641:
	v_cvt_f32_f64_e32 v4, v[26:27]
	v_bfe_u32 v5, v4, 23, 8
	s_movk_i32 s4, 0xff
	v_cmp_ne_u32_e32 vcc, s4, v5
	v_mov_b32_e32 v6, 0xff
	s_and_saveexec_b64 s[6:7], vcc
; %bb.642:
	s_mov_b32 s4, 0x3fffff
	v_lshrrev_b32_e32 v6, 23, v4
	v_and_b32_e32 v7, 0x400000, v4
	v_and_or_b32 v4, v4, s4, v5
	v_cmp_ne_u32_e32 vcc, 0, v7
	v_cmp_ne_u32_e64 s[4:5], 0, v4
	s_and_b64 s[4:5], vcc, s[4:5]
	v_cndmask_b32_e64 v4, 0, 1, s[4:5]
	v_add_u32_e32 v6, v6, v4
; %bb.643:
	s_or_b64 exec, exec, s[6:7]
	s_mov_b64 s[4:5], 0
	s_mov_b64 s[10:11], -1
	global_store_byte v[2:3], v6, off
.LBB11_644:
	s_branch .LBB11_647
.LBB11_645:
	v_mov_b32_e32 v4, 29
	v_cmp_eq_u16_sdwa s[6:7], s16, v4 src0_sel:BYTE_0 src1_sel:DWORD
	s_mov_b64 s[4:5], -1
	s_and_b64 vcc, exec, s[6:7]
	s_cbranch_vccz .LBB11_647
; %bb.646:
	v_trunc_f64_e32 v[4:5], v[26:27]
	s_movk_i32 s4, 0xffe0
	v_ldexp_f64 v[6:7], v[4:5], s4
	v_floor_f64_e32 v[6:7], v[6:7]
	v_fmac_f64_e32 v[4:5], 0xc1f00000, v[6:7]
	v_cvt_u32_f64_e32 v9, v[6:7]
	v_cvt_u32_f64_e32 v8, v[4:5]
	global_store_dwordx2 v[2:3], v[8:9], off
	s_mov_b64 s[4:5], 0
	s_mov_b64 s[10:11], -1
.LBB11_647:
	s_branch .LBB11_663
.LBB11_648:
	v_mov_b32_e32 v4, 27
	v_cmp_lt_i16_sdwa s[10:11], s16, v4 src0_sel:BYTE_0 src1_sel:DWORD
	s_mov_b64 s[6:7], -1
	s_and_b64 vcc, exec, s[10:11]
	s_cbranch_vccnz .LBB11_654
; %bb.649:
	v_cmp_gt_i16_sdwa s[10:11], s16, v4 src0_sel:BYTE_0 src1_sel:DWORD
	s_and_b64 vcc, exec, s[10:11]
	s_cbranch_vccz .LBB11_651
; %bb.650:
	v_cvt_u32_f64_e32 v4, v[26:27]
	s_mov_b64 s[6:7], 0
	global_store_dword v[2:3], v4, off
.LBB11_651:
	s_andn2_b64 vcc, exec, s[6:7]
	s_cbranch_vccnz .LBB11_653
; %bb.652:
	v_cvt_u32_f64_e32 v4, v[26:27]
	global_store_short v[2:3], v4, off
.LBB11_653:
	s_mov_b64 s[6:7], 0
.LBB11_654:
	s_andn2_b64 vcc, exec, s[6:7]
	s_cbranch_vccnz .LBB11_662
; %bb.655:
	v_cvt_f32_f64_e32 v4, v[26:27]
	v_and_b32_e32 v5, 0x7fffffff, v4
	s_mov_b32 s6, 0x43800000
	v_cmp_gt_u32_e32 vcc, s6, v5
	v_mov_b32_e32 v6, 0x80
	s_and_saveexec_b64 s[6:7], vcc
	s_cbranch_execz .LBB11_661
; %bb.656:
	s_mov_b32 s10, 0x3bffffff
	v_cmp_lt_u32_e32 vcc, s10, v5
	s_mov_b64 s[10:11], 0
                                        ; implicit-def: $vgpr5
	s_and_saveexec_b64 s[12:13], vcc
	s_xor_b64 s[12:13], exec, s[12:13]
	s_cbranch_execz .LBB11_756
; %bb.657:
	v_bfe_u32 v5, v4, 20, 1
	s_mov_b32 s14, 0x487ffff
	v_add3_u32 v5, v4, v5, s14
	s_mov_b64 s[10:11], exec
	v_lshrrev_b32_e32 v5, 20, v5
	s_or_saveexec_b64 s[12:13], s[12:13]
                                        ; implicit-def: $sgpr14
	s_xor_b64 exec, exec, s[12:13]
	s_cbranch_execnz .LBB11_757
.LBB11_658:
	s_or_b64 exec, exec, s[12:13]
	v_mov_b32_e32 v6, s14
	s_and_saveexec_b64 s[12:13], s[10:11]
.LBB11_659:
	v_lshrrev_b32_e32 v4, 24, v4
	s_movk_i32 s10, 0x80
	v_and_or_b32 v6, v4, s10, v5
.LBB11_660:
	s_or_b64 exec, exec, s[12:13]
.LBB11_661:
	s_or_b64 exec, exec, s[6:7]
	global_store_byte v[2:3], v6, off
.LBB11_662:
	s_mov_b64 s[10:11], -1
.LBB11_663:
	s_mov_b64 s[6:7], 0
.LBB11_664:
	s_and_b64 vcc, exec, s[6:7]
	s_cbranch_vccz .LBB11_704
; %bb.665:
	v_mov_b32_e32 v4, 22
	v_cmp_gt_i16_sdwa s[8:9], s16, v4 src0_sel:BYTE_0 src1_sel:DWORD
	s_mov_b64 s[6:7], -1
	s_and_b64 vcc, exec, s[8:9]
	s_cbranch_vccz .LBB11_697
; %bb.666:
	v_mov_b32_e32 v4, 24
	v_cmp_lt_i16_sdwa s[8:9], s16, v4 src0_sel:BYTE_0 src1_sel:DWORD
	s_and_b64 vcc, exec, s[8:9]
	s_cbranch_vccnz .LBB11_686
; %bb.667:
	v_cmp_gt_i16_sdwa s[8:9], s16, v4 src0_sel:BYTE_0 src1_sel:DWORD
	s_and_b64 vcc, exec, s[8:9]
	s_cbranch_vccz .LBB11_675
; %bb.668:
	v_cvt_f32_f64_e32 v4, v[26:27]
	v_and_b32_e32 v5, 0x7fffffff, v4
	s_mov_b32 s6, 0x47800000
	v_cmp_gt_u32_e32 vcc, s6, v5
	v_mov_b32_e32 v6, 0x80
	s_and_saveexec_b64 s[6:7], vcc
	s_cbranch_execz .LBB11_674
; %bb.669:
	s_mov_b32 s8, 0x37ffffff
	v_cmp_lt_u32_e32 vcc, s8, v5
	s_mov_b64 s[8:9], 0
                                        ; implicit-def: $vgpr5
	s_and_saveexec_b64 s[10:11], vcc
	s_xor_b64 s[10:11], exec, s[10:11]
	s_cbranch_execz .LBB11_760
; %bb.670:
	v_bfe_u32 v5, v4, 21, 1
	s_mov_b32 s12, 0x88fffff
	v_add3_u32 v5, v4, v5, s12
	s_mov_b64 s[8:9], exec
	v_lshrrev_b32_e32 v5, 21, v5
	s_or_saveexec_b64 s[10:11], s[10:11]
                                        ; implicit-def: $sgpr12
	s_xor_b64 exec, exec, s[10:11]
	s_cbranch_execnz .LBB11_761
.LBB11_671:
	s_or_b64 exec, exec, s[10:11]
	v_mov_b32_e32 v6, s12
	s_and_saveexec_b64 s[10:11], s[8:9]
.LBB11_672:
	v_lshrrev_b32_e32 v4, 24, v4
	s_movk_i32 s8, 0x80
	v_and_or_b32 v6, v4, s8, v5
.LBB11_673:
	s_or_b64 exec, exec, s[10:11]
.LBB11_674:
	s_or_b64 exec, exec, s[6:7]
	s_mov_b64 s[6:7], 0
	global_store_byte v[2:3], v6, off
.LBB11_675:
	s_and_b64 vcc, exec, s[6:7]
	s_cbranch_vccz .LBB11_685
; %bb.676:
	v_cvt_f32_f64_e32 v4, v[26:27]
	v_and_b32_e32 v6, 0x7fffffff, v4
	s_mov_b32 s6, 0x43f00000
	v_cmp_gt_u32_e32 vcc, s6, v6
                                        ; implicit-def: $vgpr5
	s_and_saveexec_b64 s[6:7], vcc
	s_xor_b64 s[6:7], exec, s[6:7]
	s_cbranch_execz .LBB11_682
; %bb.677:
	s_mov_b32 s8, 0x3c7fffff
	v_cmp_lt_u32_e32 vcc, s8, v6
                                        ; implicit-def: $vgpr5
	s_and_saveexec_b64 s[8:9], vcc
	s_xor_b64 s[8:9], exec, s[8:9]
; %bb.678:
	v_bfe_u32 v5, v4, 20, 1
	s_mov_b32 s10, 0x407ffff
	v_add3_u32 v5, v4, v5, s10
	v_lshrrev_b32_e32 v6, 20, v5
	v_and_b32_e32 v5, 0xff00000, v5
	s_mov_b32 s10, 0x7f00000
	v_mov_b32_e32 v7, 0x7e
	v_cmp_ne_u32_e32 vcc, s10, v5
	v_cndmask_b32_e32 v5, v7, v6, vcc
; %bb.679:
	s_andn2_saveexec_b64 s[8:9], s[8:9]
; %bb.680:
	s_mov_b32 s10, 0x46800000
	v_add_f32_e64 v5, |v4|, s10
; %bb.681:
	s_or_b64 exec, exec, s[8:9]
                                        ; implicit-def: $vgpr6
.LBB11_682:
	s_andn2_saveexec_b64 s[6:7], s[6:7]
; %bb.683:
	s_mov_b32 s8, 0x7f800000
	v_mov_b32_e32 v5, 0x7e
	v_mov_b32_e32 v7, 0x7f
	v_cmp_lt_u32_e32 vcc, s8, v6
	v_cndmask_b32_e32 v5, v5, v7, vcc
; %bb.684:
	s_or_b64 exec, exec, s[6:7]
	v_lshrrev_b32_e32 v4, 24, v4
	s_movk_i32 s6, 0x80
	v_and_or_b32 v4, v4, s6, v5
	global_store_byte v[2:3], v4, off
.LBB11_685:
	s_mov_b64 s[6:7], 0
.LBB11_686:
	s_andn2_b64 vcc, exec, s[6:7]
	s_cbranch_vccnz .LBB11_696
; %bb.687:
	v_cvt_f32_f64_e32 v4, v[26:27]
	v_and_b32_e32 v6, 0x7fffffff, v4
	s_mov_b32 s6, 0x47800000
	v_cmp_gt_u32_e32 vcc, s6, v6
                                        ; implicit-def: $vgpr5
	s_and_saveexec_b64 s[6:7], vcc
	s_xor_b64 s[6:7], exec, s[6:7]
	s_cbranch_execz .LBB11_693
; %bb.688:
	s_mov_b32 s8, 0x387fffff
	v_cmp_lt_u32_e32 vcc, s8, v6
                                        ; implicit-def: $vgpr5
	s_and_saveexec_b64 s[8:9], vcc
	s_xor_b64 s[8:9], exec, s[8:9]
; %bb.689:
	v_bfe_u32 v5, v4, 21, 1
	s_mov_b32 s10, 0x80fffff
	v_add3_u32 v5, v4, v5, s10
	v_lshrrev_b32_e32 v5, 21, v5
; %bb.690:
	s_andn2_saveexec_b64 s[8:9], s[8:9]
; %bb.691:
	s_mov_b32 s10, 0x43000000
	v_add_f32_e64 v5, |v4|, s10
; %bb.692:
	s_or_b64 exec, exec, s[8:9]
                                        ; implicit-def: $vgpr6
.LBB11_693:
	s_andn2_saveexec_b64 s[6:7], s[6:7]
; %bb.694:
	s_mov_b32 s8, 0x7f800000
	v_mov_b32_e32 v5, 0x7c
	v_mov_b32_e32 v7, 0x7f
	v_cmp_lt_u32_e32 vcc, s8, v6
	v_cndmask_b32_e32 v5, v5, v7, vcc
; %bb.695:
	s_or_b64 exec, exec, s[6:7]
	v_lshrrev_b32_e32 v4, 24, v4
	s_movk_i32 s6, 0x80
	v_and_or_b32 v4, v4, s6, v5
	global_store_byte v[2:3], v4, off
.LBB11_696:
	s_mov_b64 s[6:7], 0
	s_mov_b64 s[10:11], -1
.LBB11_697:
	s_andn2_b64 vcc, exec, s[6:7]
	s_mov_b64 s[8:9], 0
	s_cbranch_vccnz .LBB11_704
; %bb.698:
	v_mov_b32_e32 v4, 14
	v_cmp_gt_i16_sdwa s[8:9], s16, v4 src0_sel:BYTE_0 src1_sel:DWORD
	s_mov_b64 s[6:7], -1
	s_and_b64 vcc, exec, s[8:9]
	s_cbranch_vccz .LBB11_702
; %bb.699:
	v_mov_b32_e32 v4, 15
	v_cmp_eq_u16_sdwa s[6:7], s16, v4 src0_sel:BYTE_0 src1_sel:DWORD
	s_mov_b64 s[4:5], -1
	s_and_b64 vcc, exec, s[6:7]
	s_cbranch_vccz .LBB11_701
; %bb.700:
	v_cvt_f32_f64_e32 v4, v[26:27]
	v_bfe_u32 v5, v4, 16, 1
	s_movk_i32 s4, 0x7fff
	v_add3_u32 v5, v4, v5, s4
	v_lshrrev_b32_e32 v5, 16, v5
	v_mov_b32_e32 v6, 0x7fc0
	v_cmp_o_f32_e32 vcc, v4, v4
	v_cndmask_b32_e32 v4, v6, v5, vcc
	global_store_short v[2:3], v4, off
	s_mov_b64 s[4:5], 0
	s_mov_b64 s[10:11], -1
.LBB11_701:
	s_mov_b64 s[6:7], 0
.LBB11_702:
	s_mov_b64 s[8:9], 0
	s_and_b64 vcc, exec, s[6:7]
	s_cbranch_vccz .LBB11_704
; %bb.703:
	v_mov_b32_e32 v4, 11
	v_cmp_ne_u16_sdwa s[4:5], s16, v4 src0_sel:BYTE_0 src1_sel:DWORD
	s_mov_b64 s[8:9], -1
.LBB11_704:
	s_and_b64 vcc, exec, s[4:5]
	s_mov_b64 s[6:7], s[40:41]
	s_cbranch_vccnz .LBB11_759
; %bb.705:
	s_andn2_b64 vcc, exec, s[8:9]
	s_cbranch_vccnz .LBB11_707
.LBB11_706:
	v_cmp_neq_f64_e32 vcc, 0, v[26:27]
	v_cndmask_b32_e64 v4, 0, 1, vcc
	global_store_byte v[2:3], v4, off
	s_mov_b64 s[10:11], -1
.LBB11_707:
	s_branch .LBB11_635
.LBB11_708:
	v_mov_b32_e32 v4, 5
	v_cmp_lt_i16_sdwa s[8:9], s16, v4 src0_sel:BYTE_0 src1_sel:DWORD
	s_mov_b64 s[4:5], -1
	s_and_b64 vcc, exec, s[8:9]
	s_cbranch_vccnz .LBB11_729
; %bb.709:
	v_mov_b32_e32 v4, 8
	v_cmp_lt_i16_sdwa s[8:9], s16, v4 src0_sel:BYTE_0 src1_sel:DWORD
	s_and_b64 vcc, exec, s[8:9]
	s_cbranch_vccnz .LBB11_719
; %bb.710:
	v_mov_b32_e32 v4, 9
	v_cmp_lt_i16_sdwa s[8:9], s16, v4 src0_sel:BYTE_0 src1_sel:DWORD
	s_and_b64 vcc, exec, s[8:9]
	s_cbranch_vccnz .LBB11_716
; %bb.711:
	v_cmp_gt_i16_sdwa s[8:9], s16, v4 src0_sel:BYTE_0 src1_sel:DWORD
	s_and_b64 vcc, exec, s[8:9]
	s_cbranch_vccz .LBB11_713
; %bb.712:
	v_mov_b32_e32 v28, 0
	v_mov_b32_e32 v29, v28
	global_store_dwordx4 v[2:3], v[26:29], off
	s_mov_b64 s[4:5], 0
.LBB11_713:
	s_andn2_b64 vcc, exec, s[4:5]
	s_cbranch_vccnz .LBB11_715
; %bb.714:
	v_cvt_f32_f64_e32 v4, v[26:27]
	v_mov_b32_e32 v5, 0
	global_store_dwordx2 v[2:3], v[4:5], off
.LBB11_715:
	s_mov_b64 s[4:5], 0
.LBB11_716:
	s_andn2_b64 vcc, exec, s[4:5]
	s_cbranch_vccnz .LBB11_718
; %bb.717:
	v_cvt_f32_f64_e32 v4, v[26:27]
	v_cvt_f16_f32_e32 v4, v4
	global_store_dword v[2:3], v4, off
.LBB11_718:
	s_mov_b64 s[4:5], 0
.LBB11_719:
	s_andn2_b64 vcc, exec, s[4:5]
	s_cbranch_vccnz .LBB11_728
; %bb.720:
	v_mov_b32_e32 v4, 6
	v_cmp_lt_i16_sdwa s[8:9], s16, v4 src0_sel:BYTE_0 src1_sel:DWORD
	s_mov_b64 s[4:5], -1
	s_and_b64 vcc, exec, s[8:9]
	s_cbranch_vccnz .LBB11_726
; %bb.721:
	v_cmp_gt_i16_sdwa s[8:9], s16, v4 src0_sel:BYTE_0 src1_sel:DWORD
	s_and_b64 vcc, exec, s[8:9]
	s_cbranch_vccz .LBB11_723
; %bb.722:
	global_store_dwordx2 v[2:3], v[26:27], off
	s_mov_b64 s[4:5], 0
.LBB11_723:
	s_andn2_b64 vcc, exec, s[4:5]
	s_cbranch_vccnz .LBB11_725
; %bb.724:
	v_cvt_f32_f64_e32 v4, v[26:27]
	global_store_dword v[2:3], v4, off
.LBB11_725:
	s_mov_b64 s[4:5], 0
.LBB11_726:
	s_andn2_b64 vcc, exec, s[4:5]
	s_cbranch_vccnz .LBB11_728
; %bb.727:
	v_cvt_f32_f64_e32 v4, v[26:27]
	v_cvt_f16_f32_e32 v4, v4
	global_store_short v[2:3], v4, off
.LBB11_728:
	s_mov_b64 s[4:5], 0
.LBB11_729:
	s_andn2_b64 vcc, exec, s[4:5]
	s_cbranch_vccnz .LBB11_745
; %bb.730:
	v_mov_b32_e32 v4, 2
	v_cmp_lt_i16_sdwa s[8:9], s16, v4 src0_sel:BYTE_0 src1_sel:DWORD
	s_mov_b64 s[4:5], -1
	s_and_b64 vcc, exec, s[8:9]
	s_cbranch_vccnz .LBB11_740
; %bb.731:
	v_mov_b32_e32 v4, 3
	v_cmp_lt_i16_sdwa s[8:9], s16, v4 src0_sel:BYTE_0 src1_sel:DWORD
	s_and_b64 vcc, exec, s[8:9]
	s_cbranch_vccnz .LBB11_737
; %bb.732:
	v_cmp_gt_i16_sdwa s[8:9], s16, v4 src0_sel:BYTE_0 src1_sel:DWORD
	s_and_b64 vcc, exec, s[8:9]
	s_cbranch_vccz .LBB11_734
; %bb.733:
	v_trunc_f64_e32 v[4:5], v[26:27]
	s_movk_i32 s4, 0xffe0
	v_ldexp_f64 v[6:7], v[4:5], s4
	v_floor_f64_e32 v[6:7], v[6:7]
	v_fmac_f64_e32 v[4:5], 0xc1f00000, v[6:7]
	v_cvt_i32_f64_e32 v9, v[6:7]
	v_cvt_u32_f64_e32 v8, v[4:5]
	global_store_dwordx2 v[2:3], v[8:9], off
	s_mov_b64 s[4:5], 0
.LBB11_734:
	s_andn2_b64 vcc, exec, s[4:5]
	s_cbranch_vccnz .LBB11_736
; %bb.735:
	v_cvt_i32_f64_e32 v4, v[26:27]
	global_store_dword v[2:3], v4, off
.LBB11_736:
	s_mov_b64 s[4:5], 0
.LBB11_737:
	s_andn2_b64 vcc, exec, s[4:5]
	s_cbranch_vccnz .LBB11_739
; %bb.738:
	v_cvt_i32_f64_e32 v4, v[26:27]
	global_store_short v[2:3], v4, off
.LBB11_739:
	s_mov_b64 s[4:5], 0
.LBB11_740:
	s_andn2_b64 vcc, exec, s[4:5]
	s_cbranch_vccnz .LBB11_745
; %bb.741:
	v_mov_b32_e32 v4, 0
	v_cmp_gt_i16_sdwa s[8:9], s16, v4 src0_sel:BYTE_0 src1_sel:DWORD
	s_mov_b64 s[4:5], -1
	s_and_b64 vcc, exec, s[8:9]
	s_cbranch_vccz .LBB11_743
; %bb.742:
	v_cvt_i32_f64_e32 v4, v[26:27]
	global_store_byte v[2:3], v4, off
	s_mov_b64 s[4:5], 0
.LBB11_743:
	s_andn2_b64 vcc, exec, s[4:5]
	s_cbranch_vccnz .LBB11_745
; %bb.744:
	v_trunc_f64_e32 v[4:5], v[26:27]
	s_movk_i32 s4, 0xffe0
	v_ldexp_f64 v[6:7], v[4:5], s4
	v_floor_f64_e32 v[6:7], v[6:7]
	v_fmac_f64_e32 v[4:5], 0xc1f00000, v[6:7]
	v_cvt_u32_f64_e32 v4, v[4:5]
	global_store_byte v[2:3], v4, off
.LBB11_745:
.LBB11_746:
	v_mov_b32_e32 v3, s37
	v_add_co_u32_e32 v2, vcc, s36, v36
	v_mov_b32_e32 v4, 11
	v_addc_co_u32_e32 v3, vcc, 0, v3, vcc
	v_cmp_lt_i16_sdwa s[4:5], s16, v4 src0_sel:BYTE_0 src1_sel:DWORD
	s_and_b64 vcc, exec, s[4:5]
	s_cbranch_vccnz .LBB11_753
; %bb.747:
	v_mov_b32_e32 v4, 25
	v_cmp_gt_i16_sdwa s[4:5], s16, v4 src0_sel:BYTE_0 src1_sel:DWORD
	s_mov_b64 s[12:13], -1
	s_mov_b64 s[8:9], 0
	s_and_b64 vcc, exec, s[4:5]
	s_mov_b64 s[10:11], 0
	s_mov_b64 s[4:5], 0
	s_cbranch_vccz .LBB11_790
; %bb.748:
	v_mov_b32_e32 v4, 28
	v_cmp_gt_i16_sdwa s[4:5], s16, v4 src0_sel:BYTE_0 src1_sel:DWORD
	s_and_b64 vcc, exec, s[4:5]
	s_cbranch_vccz .LBB11_755
; %bb.749:
	v_mov_b32_e32 v4, 43
	v_cmp_gt_i16_sdwa s[4:5], s16, v4 src0_sel:BYTE_0 src1_sel:DWORD
	s_and_b64 vcc, exec, s[4:5]
	;; [unrolled: 5-line block ×3, first 2 shown]
	s_cbranch_vccz .LBB11_762
; %bb.751:
	v_mov_b32_e32 v4, 46
	v_cmp_eq_u16_sdwa s[10:11], s16, v4 src0_sel:BYTE_0 src1_sel:DWORD
	s_mov_b64 s[4:5], -1
	s_mov_b64 s[12:13], 0
	s_and_b64 vcc, exec, s[10:11]
	s_mov_b64 s[10:11], 0
	s_cbranch_vccz .LBB11_763
; %bb.752:
	v_cvt_f32_f64_e32 v4, v[24:25]
	v_bfe_u32 v5, v4, 16, 1
	s_movk_i32 s4, 0x7fff
	v_add3_u32 v5, v4, v5, s4
	v_lshrrev_b32_e32 v5, 16, v5
	v_mov_b32_e32 v6, 0x7fc0
	v_cmp_o_f32_e32 vcc, v4, v4
	v_cndmask_b32_e32 v4, v6, v5, vcc
	global_store_dword v[2:3], v4, off
	s_mov_b64 s[4:5], 0
	s_mov_b64 s[10:11], -1
	s_branch .LBB11_763
.LBB11_753:
	s_mov_b64 s[10:11], 0
	s_cbranch_execnz .LBB11_834
.LBB11_754:
	s_andn2_b64 vcc, exec, s[10:11]
	s_cbranch_vccz .LBB11_872
	s_branch .LBB11_1075
.LBB11_755:
	s_mov_b64 s[4:5], 0
	s_branch .LBB11_773
.LBB11_756:
	s_or_saveexec_b64 s[12:13], s[12:13]
                                        ; implicit-def: $sgpr14
	s_xor_b64 exec, exec, s[12:13]
	s_cbranch_execz .LBB11_658
.LBB11_757:
	s_mov_b32 s14, 0x46000000
	v_add_f32_e64 v5, |v4|, s14
	v_and_b32_e32 v5, 0xff, v5
	v_cmp_ne_u32_e32 vcc, 0, v5
	s_andn2_b64 s[10:11], s[10:11], exec
	s_and_b64 s[18:19], vcc, exec
	s_mov_b32 s14, 0
	s_or_b64 s[10:11], s[10:11], s[18:19]
	s_or_b64 exec, exec, s[12:13]
	v_mov_b32_e32 v6, s14
	s_and_saveexec_b64 s[12:13], s[10:11]
	s_cbranch_execnz .LBB11_659
	s_branch .LBB11_660
.LBB11_758:
	s_mov_b64 s[4:5], 0
	s_branch .LBB11_769
.LBB11_759:
	s_or_b64 s[6:7], s[40:41], exec
	s_trap 2
	s_cbranch_execz .LBB11_706
	s_branch .LBB11_707
.LBB11_760:
	s_or_saveexec_b64 s[10:11], s[10:11]
                                        ; implicit-def: $sgpr12
	s_xor_b64 exec, exec, s[10:11]
	s_cbranch_execz .LBB11_671
.LBB11_761:
	s_mov_b32 s12, 0x42800000
	v_add_f32_e64 v5, |v4|, s12
	v_and_b32_e32 v5, 0xff, v5
	v_cmp_ne_u32_e32 vcc, 0, v5
	s_andn2_b64 s[8:9], s[8:9], exec
	s_and_b64 s[14:15], vcc, exec
	s_mov_b32 s12, 0
	s_or_b64 s[8:9], s[8:9], s[14:15]
	s_or_b64 exec, exec, s[10:11]
	v_mov_b32_e32 v6, s12
	s_and_saveexec_b64 s[10:11], s[8:9]
	s_cbranch_execnz .LBB11_672
	s_branch .LBB11_673
.LBB11_762:
	s_mov_b64 s[4:5], 0
.LBB11_763:
	s_and_b64 vcc, exec, s[12:13]
	s_cbranch_vccz .LBB11_768
; %bb.764:
	v_mov_b32_e32 v4, 44
	v_cmp_eq_u16_sdwa s[12:13], s16, v4 src0_sel:BYTE_0 src1_sel:DWORD
	s_mov_b64 s[4:5], -1
	s_and_b64 vcc, exec, s[12:13]
	s_cbranch_vccz .LBB11_768
; %bb.765:
	v_cvt_f32_f64_e32 v4, v[24:25]
	v_bfe_u32 v5, v4, 23, 8
	s_movk_i32 s4, 0xff
	v_cmp_ne_u32_e32 vcc, s4, v5
	v_mov_b32_e32 v6, 0xff
	s_and_saveexec_b64 s[10:11], vcc
; %bb.766:
	s_mov_b32 s4, 0x3fffff
	v_lshrrev_b32_e32 v6, 23, v4
	v_and_b32_e32 v7, 0x400000, v4
	v_and_or_b32 v4, v4, s4, v5
	v_cmp_ne_u32_e32 vcc, 0, v7
	v_cmp_ne_u32_e64 s[4:5], 0, v4
	s_and_b64 s[4:5], vcc, s[4:5]
	v_cndmask_b32_e64 v4, 0, 1, s[4:5]
	v_add_u32_e32 v6, v6, v4
; %bb.767:
	s_or_b64 exec, exec, s[10:11]
	s_mov_b64 s[4:5], 0
	s_mov_b64 s[10:11], -1
	global_store_byte v[2:3], v6, off
.LBB11_768:
	s_mov_b64 s[12:13], 0
.LBB11_769:
	s_and_b64 vcc, exec, s[12:13]
	s_cbranch_vccz .LBB11_772
; %bb.770:
	v_mov_b32_e32 v4, 29
	v_cmp_eq_u16_sdwa s[12:13], s16, v4 src0_sel:BYTE_0 src1_sel:DWORD
	s_mov_b64 s[4:5], -1
	s_and_b64 vcc, exec, s[12:13]
	s_cbranch_vccz .LBB11_772
; %bb.771:
	v_trunc_f64_e32 v[4:5], v[24:25]
	s_movk_i32 s4, 0xffe0
	v_ldexp_f64 v[6:7], v[4:5], s4
	v_floor_f64_e32 v[6:7], v[6:7]
	v_fmac_f64_e32 v[4:5], 0xc1f00000, v[6:7]
	v_cvt_u32_f64_e32 v9, v[6:7]
	v_cvt_u32_f64_e32 v8, v[4:5]
	global_store_dwordx2 v[2:3], v[8:9], off
	s_mov_b64 s[4:5], 0
	s_mov_b64 s[10:11], -1
.LBB11_772:
	s_mov_b64 s[12:13], 0
.LBB11_773:
	s_and_b64 vcc, exec, s[12:13]
	s_cbranch_vccz .LBB11_789
; %bb.774:
	v_mov_b32_e32 v4, 27
	v_cmp_lt_i16_sdwa s[12:13], s16, v4 src0_sel:BYTE_0 src1_sel:DWORD
	s_mov_b64 s[10:11], -1
	s_and_b64 vcc, exec, s[12:13]
	s_cbranch_vccnz .LBB11_780
; %bb.775:
	v_cmp_gt_i16_sdwa s[12:13], s16, v4 src0_sel:BYTE_0 src1_sel:DWORD
	s_and_b64 vcc, exec, s[12:13]
	s_cbranch_vccz .LBB11_777
; %bb.776:
	v_cvt_u32_f64_e32 v4, v[24:25]
	s_mov_b64 s[10:11], 0
	global_store_dword v[2:3], v4, off
.LBB11_777:
	s_andn2_b64 vcc, exec, s[10:11]
	s_cbranch_vccnz .LBB11_779
; %bb.778:
	v_cvt_u32_f64_e32 v4, v[24:25]
	global_store_short v[2:3], v4, off
.LBB11_779:
	s_mov_b64 s[10:11], 0
.LBB11_780:
	s_andn2_b64 vcc, exec, s[10:11]
	s_cbranch_vccnz .LBB11_788
; %bb.781:
	v_cvt_f32_f64_e32 v4, v[24:25]
	v_and_b32_e32 v5, 0x7fffffff, v4
	s_mov_b32 s10, 0x43800000
	v_cmp_gt_u32_e32 vcc, s10, v5
	v_mov_b32_e32 v6, 0x80
	s_and_saveexec_b64 s[10:11], vcc
	s_cbranch_execz .LBB11_787
; %bb.782:
	s_mov_b32 s12, 0x3bffffff
	v_cmp_lt_u32_e32 vcc, s12, v5
	s_mov_b64 s[12:13], 0
                                        ; implicit-def: $vgpr5
	s_and_saveexec_b64 s[14:15], vcc
	s_xor_b64 s[14:15], exec, s[14:15]
	s_cbranch_execz .LBB11_959
; %bb.783:
	v_bfe_u32 v5, v4, 20, 1
	s_mov_b32 s17, 0x487ffff
	v_add3_u32 v5, v4, v5, s17
	s_mov_b64 s[12:13], exec
	v_lshrrev_b32_e32 v5, 20, v5
	s_or_saveexec_b64 s[14:15], s[14:15]
                                        ; implicit-def: $sgpr17
	s_xor_b64 exec, exec, s[14:15]
	s_cbranch_execnz .LBB11_960
.LBB11_784:
	s_or_b64 exec, exec, s[14:15]
	v_mov_b32_e32 v6, s17
	s_and_saveexec_b64 s[14:15], s[12:13]
.LBB11_785:
	v_lshrrev_b32_e32 v4, 24, v4
	s_movk_i32 s12, 0x80
	v_and_or_b32 v6, v4, s12, v5
.LBB11_786:
	s_or_b64 exec, exec, s[14:15]
.LBB11_787:
	s_or_b64 exec, exec, s[10:11]
	global_store_byte v[2:3], v6, off
.LBB11_788:
	s_mov_b64 s[10:11], -1
.LBB11_789:
	s_mov_b64 s[12:13], 0
.LBB11_790:
	s_and_b64 vcc, exec, s[12:13]
	s_cbranch_vccz .LBB11_830
; %bb.791:
	v_mov_b32_e32 v4, 22
	v_cmp_gt_i16_sdwa s[12:13], s16, v4 src0_sel:BYTE_0 src1_sel:DWORD
	s_mov_b64 s[8:9], -1
	s_and_b64 vcc, exec, s[12:13]
	s_cbranch_vccz .LBB11_823
; %bb.792:
	v_mov_b32_e32 v4, 24
	v_cmp_lt_i16_sdwa s[10:11], s16, v4 src0_sel:BYTE_0 src1_sel:DWORD
	s_and_b64 vcc, exec, s[10:11]
	s_cbranch_vccnz .LBB11_812
; %bb.793:
	v_cmp_gt_i16_sdwa s[10:11], s16, v4 src0_sel:BYTE_0 src1_sel:DWORD
	s_and_b64 vcc, exec, s[10:11]
	s_cbranch_vccz .LBB11_801
; %bb.794:
	v_cvt_f32_f64_e32 v4, v[24:25]
	v_and_b32_e32 v5, 0x7fffffff, v4
	s_mov_b32 s8, 0x47800000
	v_cmp_gt_u32_e32 vcc, s8, v5
	v_mov_b32_e32 v6, 0x80
	s_and_saveexec_b64 s[8:9], vcc
	s_cbranch_execz .LBB11_800
; %bb.795:
	s_mov_b32 s10, 0x37ffffff
	v_cmp_lt_u32_e32 vcc, s10, v5
	s_mov_b64 s[10:11], 0
                                        ; implicit-def: $vgpr5
	s_and_saveexec_b64 s[12:13], vcc
	s_xor_b64 s[12:13], exec, s[12:13]
	s_cbranch_execz .LBB11_963
; %bb.796:
	v_bfe_u32 v5, v4, 21, 1
	s_mov_b32 s14, 0x88fffff
	v_add3_u32 v5, v4, v5, s14
	s_mov_b64 s[10:11], exec
	v_lshrrev_b32_e32 v5, 21, v5
	s_or_saveexec_b64 s[12:13], s[12:13]
                                        ; implicit-def: $sgpr14
	s_xor_b64 exec, exec, s[12:13]
	s_cbranch_execnz .LBB11_964
.LBB11_797:
	s_or_b64 exec, exec, s[12:13]
	v_mov_b32_e32 v6, s14
	s_and_saveexec_b64 s[12:13], s[10:11]
.LBB11_798:
	v_lshrrev_b32_e32 v4, 24, v4
	s_movk_i32 s10, 0x80
	v_and_or_b32 v6, v4, s10, v5
.LBB11_799:
	s_or_b64 exec, exec, s[12:13]
.LBB11_800:
	s_or_b64 exec, exec, s[8:9]
	s_mov_b64 s[8:9], 0
	global_store_byte v[2:3], v6, off
.LBB11_801:
	s_and_b64 vcc, exec, s[8:9]
	s_cbranch_vccz .LBB11_811
; %bb.802:
	v_cvt_f32_f64_e32 v4, v[24:25]
	v_and_b32_e32 v6, 0x7fffffff, v4
	s_mov_b32 s8, 0x43f00000
	v_cmp_gt_u32_e32 vcc, s8, v6
                                        ; implicit-def: $vgpr5
	s_and_saveexec_b64 s[8:9], vcc
	s_xor_b64 s[8:9], exec, s[8:9]
	s_cbranch_execz .LBB11_808
; %bb.803:
	s_mov_b32 s10, 0x3c7fffff
	v_cmp_lt_u32_e32 vcc, s10, v6
                                        ; implicit-def: $vgpr5
	s_and_saveexec_b64 s[10:11], vcc
	s_xor_b64 s[10:11], exec, s[10:11]
; %bb.804:
	v_bfe_u32 v5, v4, 20, 1
	s_mov_b32 s12, 0x407ffff
	v_add3_u32 v5, v4, v5, s12
	v_lshrrev_b32_e32 v6, 20, v5
	v_and_b32_e32 v5, 0xff00000, v5
	s_mov_b32 s12, 0x7f00000
	v_mov_b32_e32 v7, 0x7e
	v_cmp_ne_u32_e32 vcc, s12, v5
	v_cndmask_b32_e32 v5, v7, v6, vcc
; %bb.805:
	s_andn2_saveexec_b64 s[10:11], s[10:11]
; %bb.806:
	s_mov_b32 s12, 0x46800000
	v_add_f32_e64 v5, |v4|, s12
; %bb.807:
	s_or_b64 exec, exec, s[10:11]
                                        ; implicit-def: $vgpr6
.LBB11_808:
	s_andn2_saveexec_b64 s[8:9], s[8:9]
; %bb.809:
	s_mov_b32 s10, 0x7f800000
	v_mov_b32_e32 v5, 0x7e
	v_mov_b32_e32 v7, 0x7f
	v_cmp_lt_u32_e32 vcc, s10, v6
	v_cndmask_b32_e32 v5, v5, v7, vcc
; %bb.810:
	s_or_b64 exec, exec, s[8:9]
	v_lshrrev_b32_e32 v4, 24, v4
	s_movk_i32 s8, 0x80
	v_and_or_b32 v4, v4, s8, v5
	global_store_byte v[2:3], v4, off
.LBB11_811:
	s_mov_b64 s[8:9], 0
.LBB11_812:
	s_andn2_b64 vcc, exec, s[8:9]
	s_cbranch_vccnz .LBB11_822
; %bb.813:
	v_cvt_f32_f64_e32 v4, v[24:25]
	v_and_b32_e32 v6, 0x7fffffff, v4
	s_mov_b32 s8, 0x47800000
	v_cmp_gt_u32_e32 vcc, s8, v6
                                        ; implicit-def: $vgpr5
	s_and_saveexec_b64 s[8:9], vcc
	s_xor_b64 s[8:9], exec, s[8:9]
	s_cbranch_execz .LBB11_819
; %bb.814:
	s_mov_b32 s10, 0x387fffff
	v_cmp_lt_u32_e32 vcc, s10, v6
                                        ; implicit-def: $vgpr5
	s_and_saveexec_b64 s[10:11], vcc
	s_xor_b64 s[10:11], exec, s[10:11]
; %bb.815:
	v_bfe_u32 v5, v4, 21, 1
	s_mov_b32 s12, 0x80fffff
	v_add3_u32 v5, v4, v5, s12
	v_lshrrev_b32_e32 v5, 21, v5
; %bb.816:
	s_andn2_saveexec_b64 s[10:11], s[10:11]
; %bb.817:
	s_mov_b32 s12, 0x43000000
	v_add_f32_e64 v5, |v4|, s12
; %bb.818:
	s_or_b64 exec, exec, s[10:11]
                                        ; implicit-def: $vgpr6
.LBB11_819:
	s_andn2_saveexec_b64 s[8:9], s[8:9]
; %bb.820:
	s_mov_b32 s10, 0x7f800000
	v_mov_b32_e32 v5, 0x7c
	v_mov_b32_e32 v7, 0x7f
	v_cmp_lt_u32_e32 vcc, s10, v6
	v_cndmask_b32_e32 v5, v5, v7, vcc
; %bb.821:
	s_or_b64 exec, exec, s[8:9]
	v_lshrrev_b32_e32 v4, 24, v4
	s_movk_i32 s8, 0x80
	v_and_or_b32 v4, v4, s8, v5
	global_store_byte v[2:3], v4, off
.LBB11_822:
	s_mov_b64 s[8:9], 0
	s_mov_b64 s[10:11], -1
.LBB11_823:
	s_andn2_b64 vcc, exec, s[8:9]
	s_mov_b64 s[8:9], 0
	s_cbranch_vccnz .LBB11_830
; %bb.824:
	v_mov_b32_e32 v4, 14
	v_cmp_gt_i16_sdwa s[8:9], s16, v4 src0_sel:BYTE_0 src1_sel:DWORD
	s_mov_b64 s[12:13], -1
	s_and_b64 vcc, exec, s[8:9]
	s_cbranch_vccz .LBB11_828
; %bb.825:
	v_mov_b32_e32 v4, 15
	v_cmp_eq_u16_sdwa s[8:9], s16, v4 src0_sel:BYTE_0 src1_sel:DWORD
	s_mov_b64 s[4:5], -1
	s_and_b64 vcc, exec, s[8:9]
	s_cbranch_vccz .LBB11_827
; %bb.826:
	v_cvt_f32_f64_e32 v4, v[24:25]
	v_bfe_u32 v5, v4, 16, 1
	s_movk_i32 s4, 0x7fff
	v_add3_u32 v5, v4, v5, s4
	v_lshrrev_b32_e32 v5, 16, v5
	v_mov_b32_e32 v6, 0x7fc0
	v_cmp_o_f32_e32 vcc, v4, v4
	v_cndmask_b32_e32 v4, v6, v5, vcc
	global_store_short v[2:3], v4, off
	s_mov_b64 s[4:5], 0
	s_mov_b64 s[10:11], -1
.LBB11_827:
	s_mov_b64 s[12:13], 0
.LBB11_828:
	s_mov_b64 s[8:9], 0
	s_and_b64 vcc, exec, s[12:13]
	s_cbranch_vccz .LBB11_830
; %bb.829:
	v_mov_b32_e32 v4, 11
	v_cmp_ne_u16_sdwa s[4:5], s16, v4 src0_sel:BYTE_0 src1_sel:DWORD
	s_mov_b64 s[8:9], -1
.LBB11_830:
	s_and_b64 vcc, exec, s[4:5]
	s_cbranch_vccnz .LBB11_962
; %bb.831:
	s_andn2_b64 vcc, exec, s[8:9]
	s_cbranch_vccnz .LBB11_833
.LBB11_832:
	v_cmp_neq_f64_e32 vcc, 0, v[24:25]
	v_cndmask_b32_e64 v4, 0, 1, vcc
	s_mov_b64 s[10:11], -1
	global_store_byte v[2:3], v4, off
.LBB11_833:
	s_branch .LBB11_754
.LBB11_834:
	v_mov_b32_e32 v4, 5
	v_cmp_lt_i16_sdwa s[8:9], s16, v4 src0_sel:BYTE_0 src1_sel:DWORD
	s_mov_b64 s[4:5], -1
	s_and_b64 vcc, exec, s[8:9]
	s_cbranch_vccnz .LBB11_855
; %bb.835:
	v_mov_b32_e32 v4, 8
	v_cmp_lt_i16_sdwa s[8:9], s16, v4 src0_sel:BYTE_0 src1_sel:DWORD
	s_and_b64 vcc, exec, s[8:9]
	s_cbranch_vccnz .LBB11_845
; %bb.836:
	v_mov_b32_e32 v4, 9
	v_cmp_lt_i16_sdwa s[8:9], s16, v4 src0_sel:BYTE_0 src1_sel:DWORD
	s_and_b64 vcc, exec, s[8:9]
	s_cbranch_vccnz .LBB11_842
; %bb.837:
	v_cmp_gt_i16_sdwa s[8:9], s16, v4 src0_sel:BYTE_0 src1_sel:DWORD
	s_and_b64 vcc, exec, s[8:9]
	s_cbranch_vccz .LBB11_839
; %bb.838:
	v_mov_b32_e32 v26, 0
	v_mov_b32_e32 v27, v26
	global_store_dwordx4 v[2:3], v[24:27], off
	s_mov_b64 s[4:5], 0
.LBB11_839:
	s_andn2_b64 vcc, exec, s[4:5]
	s_cbranch_vccnz .LBB11_841
; %bb.840:
	v_cvt_f32_f64_e32 v4, v[24:25]
	v_mov_b32_e32 v5, 0
	global_store_dwordx2 v[2:3], v[4:5], off
.LBB11_841:
	s_mov_b64 s[4:5], 0
.LBB11_842:
	s_andn2_b64 vcc, exec, s[4:5]
	s_cbranch_vccnz .LBB11_844
; %bb.843:
	v_cvt_f32_f64_e32 v4, v[24:25]
	v_cvt_f16_f32_e32 v4, v4
	global_store_dword v[2:3], v4, off
.LBB11_844:
	s_mov_b64 s[4:5], 0
.LBB11_845:
	s_andn2_b64 vcc, exec, s[4:5]
	s_cbranch_vccnz .LBB11_854
; %bb.846:
	v_mov_b32_e32 v4, 6
	v_cmp_lt_i16_sdwa s[8:9], s16, v4 src0_sel:BYTE_0 src1_sel:DWORD
	s_mov_b64 s[4:5], -1
	s_and_b64 vcc, exec, s[8:9]
	s_cbranch_vccnz .LBB11_852
; %bb.847:
	v_cmp_gt_i16_sdwa s[8:9], s16, v4 src0_sel:BYTE_0 src1_sel:DWORD
	s_and_b64 vcc, exec, s[8:9]
	s_cbranch_vccz .LBB11_849
; %bb.848:
	global_store_dwordx2 v[2:3], v[24:25], off
	s_mov_b64 s[4:5], 0
.LBB11_849:
	s_andn2_b64 vcc, exec, s[4:5]
	s_cbranch_vccnz .LBB11_851
; %bb.850:
	v_cvt_f32_f64_e32 v4, v[24:25]
	global_store_dword v[2:3], v4, off
.LBB11_851:
	s_mov_b64 s[4:5], 0
.LBB11_852:
	s_andn2_b64 vcc, exec, s[4:5]
	s_cbranch_vccnz .LBB11_854
; %bb.853:
	v_cvt_f32_f64_e32 v4, v[24:25]
	v_cvt_f16_f32_e32 v4, v4
	global_store_short v[2:3], v4, off
.LBB11_854:
	s_mov_b64 s[4:5], 0
.LBB11_855:
	s_andn2_b64 vcc, exec, s[4:5]
	s_cbranch_vccnz .LBB11_871
; %bb.856:
	v_mov_b32_e32 v4, 2
	v_cmp_lt_i16_sdwa s[8:9], s16, v4 src0_sel:BYTE_0 src1_sel:DWORD
	s_mov_b64 s[4:5], -1
	s_and_b64 vcc, exec, s[8:9]
	s_cbranch_vccnz .LBB11_866
; %bb.857:
	v_mov_b32_e32 v4, 3
	v_cmp_lt_i16_sdwa s[8:9], s16, v4 src0_sel:BYTE_0 src1_sel:DWORD
	s_and_b64 vcc, exec, s[8:9]
	s_cbranch_vccnz .LBB11_863
; %bb.858:
	v_cmp_gt_i16_sdwa s[8:9], s16, v4 src0_sel:BYTE_0 src1_sel:DWORD
	s_and_b64 vcc, exec, s[8:9]
	s_cbranch_vccz .LBB11_860
; %bb.859:
	v_trunc_f64_e32 v[4:5], v[24:25]
	s_movk_i32 s4, 0xffe0
	v_ldexp_f64 v[6:7], v[4:5], s4
	v_floor_f64_e32 v[6:7], v[6:7]
	v_fmac_f64_e32 v[4:5], 0xc1f00000, v[6:7]
	v_cvt_i32_f64_e32 v9, v[6:7]
	v_cvt_u32_f64_e32 v8, v[4:5]
	global_store_dwordx2 v[2:3], v[8:9], off
	s_mov_b64 s[4:5], 0
.LBB11_860:
	s_andn2_b64 vcc, exec, s[4:5]
	s_cbranch_vccnz .LBB11_862
; %bb.861:
	v_cvt_i32_f64_e32 v4, v[24:25]
	global_store_dword v[2:3], v4, off
.LBB11_862:
	s_mov_b64 s[4:5], 0
.LBB11_863:
	s_andn2_b64 vcc, exec, s[4:5]
	s_cbranch_vccnz .LBB11_865
; %bb.864:
	v_cvt_i32_f64_e32 v4, v[24:25]
	global_store_short v[2:3], v4, off
.LBB11_865:
	s_mov_b64 s[4:5], 0
.LBB11_866:
	s_andn2_b64 vcc, exec, s[4:5]
	s_cbranch_vccnz .LBB11_871
; %bb.867:
	v_mov_b32_e32 v4, 0
	v_cmp_gt_i16_sdwa s[8:9], s16, v4 src0_sel:BYTE_0 src1_sel:DWORD
	s_mov_b64 s[4:5], -1
	s_and_b64 vcc, exec, s[8:9]
	s_cbranch_vccz .LBB11_869
; %bb.868:
	v_cvt_i32_f64_e32 v4, v[24:25]
	global_store_byte v[2:3], v4, off
	s_mov_b64 s[4:5], 0
.LBB11_869:
	s_andn2_b64 vcc, exec, s[4:5]
	s_cbranch_vccnz .LBB11_871
; %bb.870:
	v_trunc_f64_e32 v[4:5], v[24:25]
	s_movk_i32 s4, 0xffe0
	v_ldexp_f64 v[6:7], v[4:5], s4
	v_floor_f64_e32 v[6:7], v[6:7]
	v_fmac_f64_e32 v[4:5], 0xc1f00000, v[6:7]
	v_cvt_u32_f64_e32 v4, v[4:5]
	global_store_byte v[2:3], v4, off
.LBB11_871:
.LBB11_872:
	v_mov_b32_e32 v3, s37
	v_add_co_u32_e32 v2, vcc, s36, v34
	v_mov_b32_e32 v4, 11
	v_addc_co_u32_e32 v3, vcc, 0, v3, vcc
	v_cmp_lt_i16_sdwa s[4:5], s16, v4 src0_sel:BYTE_0 src1_sel:DWORD
	s_and_b64 vcc, exec, s[4:5]
	s_cbranch_vccnz .LBB11_879
; %bb.873:
	v_mov_b32_e32 v4, 25
	v_cmp_gt_i16_sdwa s[4:5], s16, v4 src0_sel:BYTE_0 src1_sel:DWORD
	s_mov_b64 s[12:13], -1
	s_mov_b64 s[8:9], 0
	s_and_b64 vcc, exec, s[4:5]
	s_mov_b64 s[10:11], 0
	s_mov_b64 s[4:5], 0
	s_cbranch_vccz .LBB11_993
; %bb.874:
	v_mov_b32_e32 v4, 28
	v_cmp_gt_i16_sdwa s[4:5], s16, v4 src0_sel:BYTE_0 src1_sel:DWORD
	s_and_b64 vcc, exec, s[4:5]
	s_cbranch_vccz .LBB11_958
; %bb.875:
	v_mov_b32_e32 v4, 43
	v_cmp_gt_i16_sdwa s[4:5], s16, v4 src0_sel:BYTE_0 src1_sel:DWORD
	s_and_b64 vcc, exec, s[4:5]
	;; [unrolled: 5-line block ×3, first 2 shown]
	s_cbranch_vccz .LBB11_965
; %bb.877:
	v_mov_b32_e32 v4, 46
	v_cmp_eq_u16_sdwa s[10:11], s16, v4 src0_sel:BYTE_0 src1_sel:DWORD
	s_mov_b64 s[4:5], -1
	s_mov_b64 s[12:13], 0
	s_and_b64 vcc, exec, s[10:11]
	s_mov_b64 s[10:11], 0
	s_cbranch_vccz .LBB11_966
; %bb.878:
	v_cvt_f32_f64_e32 v4, v[22:23]
	v_bfe_u32 v5, v4, 16, 1
	s_movk_i32 s4, 0x7fff
	v_add3_u32 v5, v4, v5, s4
	v_lshrrev_b32_e32 v5, 16, v5
	v_mov_b32_e32 v6, 0x7fc0
	v_cmp_o_f32_e32 vcc, v4, v4
	v_cndmask_b32_e32 v4, v6, v5, vcc
	global_store_dword v[2:3], v4, off
	s_mov_b64 s[4:5], 0
	s_mov_b64 s[10:11], -1
	s_branch .LBB11_966
.LBB11_879:
	s_mov_b64 s[10:11], 0
	s_cbranch_execnz .LBB11_1037
.LBB11_880:
	s_andn2_b64 vcc, exec, s[10:11]
	s_cbranch_vccnz .LBB11_1075
.LBB11_881:
	v_mov_b32_e32 v2, s37
	v_add_co_u32_e32 v4, vcc, s36, v32
	v_addc_co_u32_e32 v5, vcc, 0, v2, vcc
	v_mov_b32_e32 v2, 0xff
	v_and_b32_e32 v7, s16, v2
	v_cmp_gt_i16_e32 vcc, 11, v7
	s_cbranch_vccnz .LBB11_957
; %bb.882:
	v_cmp_lt_i16_e32 vcc, 25, v7
	s_mov_b64 s[10:11], -1
	s_mov_b64 s[8:9], 0
	s_mov_b64 s[4:5], 0
	s_cbranch_vccz .LBB11_915
; %bb.883:
	v_cmp_lt_i16_e32 vcc, 28, v7
	s_cbranch_vccz .LBB11_899
; %bb.884:
	v_cmp_lt_i16_e32 vcc, 43, v7
	;; [unrolled: 3-line block ×3, first 2 shown]
	s_cbranch_vccz .LBB11_889
; %bb.886:
	v_cmp_eq_u16_e32 vcc, 46, v7
	s_mov_b64 s[4:5], -1
	s_cbranch_vccz .LBB11_888
; %bb.887:
	v_cvt_f32_f64_e32 v2, v[0:1]
	v_bfe_u32 v3, v2, 16, 1
	s_movk_i32 s4, 0x7fff
	v_add3_u32 v3, v2, v3, s4
	v_lshrrev_b32_e32 v3, 16, v3
	v_mov_b32_e32 v6, 0x7fc0
	v_cmp_o_f32_e32 vcc, v2, v2
	v_cndmask_b32_e32 v2, v6, v3, vcc
	global_store_dword v[4:5], v2, off
	s_mov_b64 s[4:5], 0
.LBB11_888:
	s_mov_b64 s[10:11], 0
.LBB11_889:
	s_and_b64 vcc, exec, s[10:11]
	s_cbranch_vccz .LBB11_894
; %bb.890:
	v_cmp_eq_u16_e32 vcc, 44, v7
	s_mov_b64 s[4:5], -1
	s_cbranch_vccz .LBB11_894
; %bb.891:
	v_cvt_f32_f64_e32 v2, v[0:1]
	v_bfe_u32 v3, v2, 23, 8
	s_movk_i32 s4, 0xff
	v_cmp_ne_u32_e32 vcc, s4, v3
	v_mov_b32_e32 v6, 0xff
	s_and_saveexec_b64 s[10:11], vcc
; %bb.892:
	s_mov_b32 s4, 0x3fffff
	v_lshrrev_b32_e32 v6, 23, v2
	v_and_b32_e32 v8, 0x400000, v2
	v_and_or_b32 v2, v2, s4, v3
	v_cmp_ne_u32_e32 vcc, 0, v8
	v_cmp_ne_u32_e64 s[4:5], 0, v2
	s_and_b64 s[4:5], vcc, s[4:5]
	v_cndmask_b32_e64 v2, 0, 1, s[4:5]
	v_add_u32_e32 v6, v6, v2
; %bb.893:
	s_or_b64 exec, exec, s[10:11]
	s_mov_b64 s[4:5], 0
	global_store_byte v[4:5], v6, off
.LBB11_894:
	s_mov_b64 s[10:11], 0
.LBB11_895:
	s_and_b64 vcc, exec, s[10:11]
	s_cbranch_vccz .LBB11_898
; %bb.896:
	v_cmp_eq_u16_e32 vcc, 29, v7
	s_mov_b64 s[4:5], -1
	s_cbranch_vccz .LBB11_898
; %bb.897:
	v_trunc_f64_e32 v[2:3], v[0:1]
	s_movk_i32 s4, 0xffe0
	v_ldexp_f64 v[8:9], v[2:3], s4
	v_floor_f64_e32 v[8:9], v[8:9]
	v_fmac_f64_e32 v[2:3], 0xc1f00000, v[8:9]
	v_cvt_u32_f64_e32 v11, v[8:9]
	v_cvt_u32_f64_e32 v10, v[2:3]
	global_store_dwordx2 v[4:5], v[10:11], off
	s_mov_b64 s[4:5], 0
.LBB11_898:
	s_mov_b64 s[10:11], 0
.LBB11_899:
	s_and_b64 vcc, exec, s[10:11]
	s_cbranch_vccz .LBB11_914
; %bb.900:
	v_cmp_gt_i16_e32 vcc, 27, v7
	s_mov_b64 s[10:11], -1
	s_cbranch_vccnz .LBB11_906
; %bb.901:
	v_cmp_lt_i16_e32 vcc, 27, v7
	v_cvt_u32_f64_e32 v2, v[0:1]
	s_cbranch_vccz .LBB11_903
; %bb.902:
	global_store_dword v[4:5], v2, off
	s_mov_b64 s[10:11], 0
.LBB11_903:
	s_andn2_b64 vcc, exec, s[10:11]
	s_cbranch_vccnz .LBB11_905
; %bb.904:
	global_store_short v[4:5], v2, off
.LBB11_905:
	s_mov_b64 s[10:11], 0
.LBB11_906:
	s_andn2_b64 vcc, exec, s[10:11]
	s_cbranch_vccnz .LBB11_914
; %bb.907:
	v_cvt_f32_f64_e32 v2, v[0:1]
	v_and_b32_e32 v3, 0x7fffffff, v2
	s_mov_b32 s10, 0x43800000
	v_cmp_gt_u32_e32 vcc, s10, v3
	v_mov_b32_e32 v6, 0x80
	s_and_saveexec_b64 s[10:11], vcc
	s_cbranch_execz .LBB11_913
; %bb.908:
	s_mov_b32 s12, 0x3bffffff
	v_cmp_lt_u32_e32 vcc, s12, v3
	s_mov_b64 s[12:13], 0
                                        ; implicit-def: $vgpr3
	s_and_saveexec_b64 s[14:15], vcc
	s_xor_b64 s[14:15], exec, s[14:15]
	s_cbranch_execz .LBB11_1125
; %bb.909:
	v_bfe_u32 v3, v2, 20, 1
	s_mov_b32 s16, 0x487ffff
	v_add3_u32 v3, v2, v3, s16
	s_mov_b64 s[12:13], exec
	v_lshrrev_b32_e32 v3, 20, v3
	s_or_saveexec_b64 s[14:15], s[14:15]
                                        ; implicit-def: $sgpr16
	s_xor_b64 exec, exec, s[14:15]
	s_cbranch_execnz .LBB11_1126
.LBB11_910:
	s_or_b64 exec, exec, s[14:15]
	v_mov_b32_e32 v6, s16
	s_and_saveexec_b64 s[14:15], s[12:13]
.LBB11_911:
	v_lshrrev_b32_e32 v2, 24, v2
	s_movk_i32 s12, 0x80
	v_and_or_b32 v6, v2, s12, v3
.LBB11_912:
	s_or_b64 exec, exec, s[14:15]
.LBB11_913:
	s_or_b64 exec, exec, s[10:11]
	global_store_byte v[4:5], v6, off
.LBB11_914:
	s_mov_b64 s[10:11], 0
.LBB11_915:
	s_and_b64 vcc, exec, s[10:11]
	s_cbranch_vccz .LBB11_955
; %bb.916:
	v_cmp_lt_i16_e32 vcc, 22, v7
	s_mov_b64 s[8:9], -1
	s_cbranch_vccz .LBB11_948
; %bb.917:
	v_cmp_gt_i16_e32 vcc, 24, v7
	s_cbranch_vccnz .LBB11_937
; %bb.918:
	v_cmp_lt_i16_e32 vcc, 24, v7
	s_cbranch_vccz .LBB11_926
; %bb.919:
	v_cvt_f32_f64_e32 v2, v[0:1]
	v_and_b32_e32 v3, 0x7fffffff, v2
	s_mov_b32 s8, 0x47800000
	v_cmp_gt_u32_e32 vcc, s8, v3
	v_mov_b32_e32 v6, 0x80
	s_and_saveexec_b64 s[8:9], vcc
	s_cbranch_execz .LBB11_925
; %bb.920:
	s_mov_b32 s10, 0x37ffffff
	v_cmp_lt_u32_e32 vcc, s10, v3
	s_mov_b64 s[10:11], 0
                                        ; implicit-def: $vgpr3
	s_and_saveexec_b64 s[12:13], vcc
	s_xor_b64 s[12:13], exec, s[12:13]
	s_cbranch_execz .LBB11_1134
; %bb.921:
	v_bfe_u32 v3, v2, 21, 1
	s_mov_b32 s14, 0x88fffff
	v_add3_u32 v3, v2, v3, s14
	s_mov_b64 s[10:11], exec
	v_lshrrev_b32_e32 v3, 21, v3
	s_or_saveexec_b64 s[12:13], s[12:13]
                                        ; implicit-def: $sgpr14
	s_xor_b64 exec, exec, s[12:13]
	s_cbranch_execnz .LBB11_1135
.LBB11_922:
	s_or_b64 exec, exec, s[12:13]
	v_mov_b32_e32 v6, s14
	s_and_saveexec_b64 s[12:13], s[10:11]
.LBB11_923:
	v_lshrrev_b32_e32 v2, 24, v2
	s_movk_i32 s10, 0x80
	v_and_or_b32 v6, v2, s10, v3
.LBB11_924:
	s_or_b64 exec, exec, s[12:13]
.LBB11_925:
	s_or_b64 exec, exec, s[8:9]
	s_mov_b64 s[8:9], 0
	global_store_byte v[4:5], v6, off
.LBB11_926:
	s_and_b64 vcc, exec, s[8:9]
	s_cbranch_vccz .LBB11_936
; %bb.927:
	v_cvt_f32_f64_e32 v2, v[0:1]
	v_and_b32_e32 v6, 0x7fffffff, v2
	s_mov_b32 s8, 0x43f00000
	v_cmp_gt_u32_e32 vcc, s8, v6
                                        ; implicit-def: $vgpr3
	s_and_saveexec_b64 s[8:9], vcc
	s_xor_b64 s[8:9], exec, s[8:9]
	s_cbranch_execz .LBB11_933
; %bb.928:
	s_mov_b32 s10, 0x3c7fffff
	v_cmp_lt_u32_e32 vcc, s10, v6
                                        ; implicit-def: $vgpr3
	s_and_saveexec_b64 s[10:11], vcc
	s_xor_b64 s[10:11], exec, s[10:11]
; %bb.929:
	v_bfe_u32 v3, v2, 20, 1
	s_mov_b32 s12, 0x407ffff
	v_add3_u32 v3, v2, v3, s12
	v_lshrrev_b32_e32 v6, 20, v3
	v_and_b32_e32 v3, 0xff00000, v3
	s_mov_b32 s12, 0x7f00000
	v_mov_b32_e32 v8, 0x7e
	v_cmp_ne_u32_e32 vcc, s12, v3
	v_cndmask_b32_e32 v3, v8, v6, vcc
; %bb.930:
	s_andn2_saveexec_b64 s[10:11], s[10:11]
; %bb.931:
	s_mov_b32 s12, 0x46800000
	v_add_f32_e64 v3, |v2|, s12
; %bb.932:
	s_or_b64 exec, exec, s[10:11]
                                        ; implicit-def: $vgpr6
.LBB11_933:
	s_andn2_saveexec_b64 s[8:9], s[8:9]
; %bb.934:
	s_mov_b32 s10, 0x7f800000
	v_mov_b32_e32 v3, 0x7e
	v_mov_b32_e32 v8, 0x7f
	v_cmp_lt_u32_e32 vcc, s10, v6
	v_cndmask_b32_e32 v3, v3, v8, vcc
; %bb.935:
	s_or_b64 exec, exec, s[8:9]
	v_lshrrev_b32_e32 v2, 24, v2
	s_movk_i32 s8, 0x80
	v_and_or_b32 v2, v2, s8, v3
	global_store_byte v[4:5], v2, off
.LBB11_936:
	s_mov_b64 s[8:9], 0
.LBB11_937:
	s_andn2_b64 vcc, exec, s[8:9]
	s_cbranch_vccnz .LBB11_947
; %bb.938:
	v_cvt_f32_f64_e32 v2, v[0:1]
	v_and_b32_e32 v6, 0x7fffffff, v2
	s_mov_b32 s8, 0x47800000
	v_cmp_gt_u32_e32 vcc, s8, v6
                                        ; implicit-def: $vgpr3
	s_and_saveexec_b64 s[8:9], vcc
	s_xor_b64 s[8:9], exec, s[8:9]
	s_cbranch_execz .LBB11_944
; %bb.939:
	s_mov_b32 s10, 0x387fffff
	v_cmp_lt_u32_e32 vcc, s10, v6
                                        ; implicit-def: $vgpr3
	s_and_saveexec_b64 s[10:11], vcc
	s_xor_b64 s[10:11], exec, s[10:11]
; %bb.940:
	v_bfe_u32 v3, v2, 21, 1
	s_mov_b32 s12, 0x80fffff
	v_add3_u32 v3, v2, v3, s12
	v_lshrrev_b32_e32 v3, 21, v3
; %bb.941:
	s_andn2_saveexec_b64 s[10:11], s[10:11]
; %bb.942:
	s_mov_b32 s12, 0x43000000
	v_add_f32_e64 v3, |v2|, s12
; %bb.943:
	s_or_b64 exec, exec, s[10:11]
                                        ; implicit-def: $vgpr6
.LBB11_944:
	s_andn2_saveexec_b64 s[8:9], s[8:9]
; %bb.945:
	s_mov_b32 s10, 0x7f800000
	v_mov_b32_e32 v3, 0x7c
	v_mov_b32_e32 v8, 0x7f
	v_cmp_lt_u32_e32 vcc, s10, v6
	v_cndmask_b32_e32 v3, v3, v8, vcc
; %bb.946:
	s_or_b64 exec, exec, s[8:9]
	v_lshrrev_b32_e32 v2, 24, v2
	s_movk_i32 s8, 0x80
	v_and_or_b32 v2, v2, s8, v3
	global_store_byte v[4:5], v2, off
.LBB11_947:
	s_mov_b64 s[8:9], 0
.LBB11_948:
	s_andn2_b64 vcc, exec, s[8:9]
	s_mov_b64 s[8:9], 0
	s_cbranch_vccnz .LBB11_955
; %bb.949:
	v_cmp_lt_i16_e32 vcc, 14, v7
	s_mov_b64 s[10:11], -1
	s_cbranch_vccz .LBB11_953
; %bb.950:
	v_cmp_eq_u16_e32 vcc, 15, v7
	s_mov_b64 s[4:5], -1
	s_cbranch_vccz .LBB11_952
; %bb.951:
	v_cvt_f32_f64_e32 v2, v[0:1]
	v_bfe_u32 v3, v2, 16, 1
	s_movk_i32 s4, 0x7fff
	v_add3_u32 v3, v2, v3, s4
	v_lshrrev_b32_e32 v3, 16, v3
	v_mov_b32_e32 v6, 0x7fc0
	v_cmp_o_f32_e32 vcc, v2, v2
	v_cndmask_b32_e32 v2, v6, v3, vcc
	global_store_short v[4:5], v2, off
	s_mov_b64 s[4:5], 0
.LBB11_952:
	s_mov_b64 s[10:11], 0
.LBB11_953:
	s_and_b64 vcc, exec, s[10:11]
	s_cbranch_vccz .LBB11_955
; %bb.954:
	v_cmp_ne_u16_e64 s[4:5], 11, v7
	s_mov_b64 s[8:9], -1
.LBB11_955:
	s_and_b64 vcc, exec, s[4:5]
	s_cbranch_vccnz .LBB11_1129
.LBB11_956:
	s_mov_b64 s[4:5], 0
	s_branch .LBB11_1076
.LBB11_957:
	s_mov_b64 s[8:9], 0
	s_mov_b64 s[4:5], -1
	s_branch .LBB11_1076
.LBB11_958:
	s_mov_b64 s[4:5], 0
	s_branch .LBB11_976
.LBB11_959:
	s_or_saveexec_b64 s[14:15], s[14:15]
                                        ; implicit-def: $sgpr17
	s_xor_b64 exec, exec, s[14:15]
	s_cbranch_execz .LBB11_784
.LBB11_960:
	s_mov_b32 s17, 0x46000000
	v_add_f32_e64 v5, |v4|, s17
	v_and_b32_e32 v5, 0xff, v5
	v_cmp_ne_u32_e32 vcc, 0, v5
	s_andn2_b64 s[12:13], s[12:13], exec
	s_and_b64 s[18:19], vcc, exec
	s_mov_b32 s17, 0
	s_or_b64 s[12:13], s[12:13], s[18:19]
	s_or_b64 exec, exec, s[14:15]
	v_mov_b32_e32 v6, s17
	s_and_saveexec_b64 s[14:15], s[12:13]
	s_cbranch_execnz .LBB11_785
	s_branch .LBB11_786
.LBB11_961:
	s_mov_b64 s[4:5], 0
	s_branch .LBB11_972
.LBB11_962:
	s_trap 2
	s_or_b64 s[6:7], s[6:7], exec
	s_cbranch_execz .LBB11_832
	s_branch .LBB11_833
.LBB11_963:
	s_or_saveexec_b64 s[12:13], s[12:13]
                                        ; implicit-def: $sgpr14
	s_xor_b64 exec, exec, s[12:13]
	s_cbranch_execz .LBB11_797
.LBB11_964:
	s_mov_b32 s14, 0x42800000
	v_add_f32_e64 v5, |v4|, s14
	v_and_b32_e32 v5, 0xff, v5
	v_cmp_ne_u32_e32 vcc, 0, v5
	s_andn2_b64 s[10:11], s[10:11], exec
	s_and_b64 s[18:19], vcc, exec
	s_mov_b32 s14, 0
	s_or_b64 s[10:11], s[10:11], s[18:19]
	s_or_b64 exec, exec, s[12:13]
	v_mov_b32_e32 v6, s14
	s_and_saveexec_b64 s[12:13], s[10:11]
	s_cbranch_execnz .LBB11_798
	s_branch .LBB11_799
.LBB11_965:
	s_mov_b64 s[4:5], 0
.LBB11_966:
	s_and_b64 vcc, exec, s[12:13]
	s_cbranch_vccz .LBB11_971
; %bb.967:
	v_mov_b32_e32 v4, 44
	v_cmp_eq_u16_sdwa s[12:13], s16, v4 src0_sel:BYTE_0 src1_sel:DWORD
	s_mov_b64 s[4:5], -1
	s_and_b64 vcc, exec, s[12:13]
	s_cbranch_vccz .LBB11_971
; %bb.968:
	v_cvt_f32_f64_e32 v4, v[22:23]
	v_bfe_u32 v5, v4, 23, 8
	s_movk_i32 s4, 0xff
	v_cmp_ne_u32_e32 vcc, s4, v5
	v_mov_b32_e32 v6, 0xff
	s_and_saveexec_b64 s[10:11], vcc
; %bb.969:
	s_mov_b32 s4, 0x3fffff
	v_lshrrev_b32_e32 v6, 23, v4
	v_and_b32_e32 v7, 0x400000, v4
	v_and_or_b32 v4, v4, s4, v5
	v_cmp_ne_u32_e32 vcc, 0, v7
	v_cmp_ne_u32_e64 s[4:5], 0, v4
	s_and_b64 s[4:5], vcc, s[4:5]
	v_cndmask_b32_e64 v4, 0, 1, s[4:5]
	v_add_u32_e32 v6, v6, v4
; %bb.970:
	s_or_b64 exec, exec, s[10:11]
	s_mov_b64 s[4:5], 0
	s_mov_b64 s[10:11], -1
	global_store_byte v[2:3], v6, off
.LBB11_971:
	s_mov_b64 s[12:13], 0
.LBB11_972:
	s_and_b64 vcc, exec, s[12:13]
	s_cbranch_vccz .LBB11_975
; %bb.973:
	v_mov_b32_e32 v4, 29
	v_cmp_eq_u16_sdwa s[12:13], s16, v4 src0_sel:BYTE_0 src1_sel:DWORD
	s_mov_b64 s[4:5], -1
	s_and_b64 vcc, exec, s[12:13]
	s_cbranch_vccz .LBB11_975
; %bb.974:
	v_trunc_f64_e32 v[4:5], v[22:23]
	s_movk_i32 s4, 0xffe0
	v_ldexp_f64 v[6:7], v[4:5], s4
	v_floor_f64_e32 v[6:7], v[6:7]
	v_fmac_f64_e32 v[4:5], 0xc1f00000, v[6:7]
	v_cvt_u32_f64_e32 v9, v[6:7]
	v_cvt_u32_f64_e32 v8, v[4:5]
	global_store_dwordx2 v[2:3], v[8:9], off
	s_mov_b64 s[4:5], 0
	s_mov_b64 s[10:11], -1
.LBB11_975:
	s_mov_b64 s[12:13], 0
.LBB11_976:
	s_and_b64 vcc, exec, s[12:13]
	s_cbranch_vccz .LBB11_992
; %bb.977:
	v_mov_b32_e32 v4, 27
	v_cmp_lt_i16_sdwa s[12:13], s16, v4 src0_sel:BYTE_0 src1_sel:DWORD
	s_mov_b64 s[10:11], -1
	s_and_b64 vcc, exec, s[12:13]
	s_cbranch_vccnz .LBB11_983
; %bb.978:
	v_cmp_gt_i16_sdwa s[12:13], s16, v4 src0_sel:BYTE_0 src1_sel:DWORD
	s_and_b64 vcc, exec, s[12:13]
	v_cvt_u32_f64_e32 v4, v[22:23]
	s_cbranch_vccz .LBB11_980
; %bb.979:
	s_mov_b64 s[10:11], 0
	global_store_dword v[2:3], v4, off
.LBB11_980:
	s_andn2_b64 vcc, exec, s[10:11]
	s_cbranch_vccnz .LBB11_982
; %bb.981:
	global_store_short v[2:3], v4, off
.LBB11_982:
	s_mov_b64 s[10:11], 0
.LBB11_983:
	s_andn2_b64 vcc, exec, s[10:11]
	s_cbranch_vccnz .LBB11_991
; %bb.984:
	v_cvt_f32_f64_e32 v4, v[22:23]
	v_and_b32_e32 v5, 0x7fffffff, v4
	s_mov_b32 s10, 0x43800000
	v_cmp_gt_u32_e32 vcc, s10, v5
	v_mov_b32_e32 v6, 0x80
	s_and_saveexec_b64 s[10:11], vcc
	s_cbranch_execz .LBB11_990
; %bb.985:
	s_mov_b32 s12, 0x3bffffff
	v_cmp_lt_u32_e32 vcc, s12, v5
	s_mov_b64 s[12:13], 0
                                        ; implicit-def: $vgpr5
	s_and_saveexec_b64 s[14:15], vcc
	s_xor_b64 s[14:15], exec, s[14:15]
	s_cbranch_execz .LBB11_1120
; %bb.986:
	v_bfe_u32 v5, v4, 20, 1
	s_mov_b32 s17, 0x487ffff
	v_add3_u32 v5, v4, v5, s17
	s_mov_b64 s[12:13], exec
	v_lshrrev_b32_e32 v5, 20, v5
	s_or_saveexec_b64 s[14:15], s[14:15]
                                        ; implicit-def: $sgpr17
	s_xor_b64 exec, exec, s[14:15]
	s_cbranch_execnz .LBB11_1121
.LBB11_987:
	s_or_b64 exec, exec, s[14:15]
	v_mov_b32_e32 v6, s17
	s_and_saveexec_b64 s[14:15], s[12:13]
.LBB11_988:
	v_lshrrev_b32_e32 v4, 24, v4
	s_movk_i32 s12, 0x80
	v_and_or_b32 v6, v4, s12, v5
.LBB11_989:
	s_or_b64 exec, exec, s[14:15]
.LBB11_990:
	s_or_b64 exec, exec, s[10:11]
	global_store_byte v[2:3], v6, off
.LBB11_991:
	s_mov_b64 s[10:11], -1
.LBB11_992:
	s_mov_b64 s[12:13], 0
.LBB11_993:
	s_and_b64 vcc, exec, s[12:13]
	s_cbranch_vccz .LBB11_1033
; %bb.994:
	v_mov_b32_e32 v4, 22
	v_cmp_gt_i16_sdwa s[12:13], s16, v4 src0_sel:BYTE_0 src1_sel:DWORD
	s_mov_b64 s[8:9], -1
	s_and_b64 vcc, exec, s[12:13]
	s_cbranch_vccz .LBB11_1026
; %bb.995:
	v_mov_b32_e32 v4, 24
	v_cmp_lt_i16_sdwa s[10:11], s16, v4 src0_sel:BYTE_0 src1_sel:DWORD
	s_and_b64 vcc, exec, s[10:11]
	s_cbranch_vccnz .LBB11_1015
; %bb.996:
	v_cmp_gt_i16_sdwa s[10:11], s16, v4 src0_sel:BYTE_0 src1_sel:DWORD
	s_and_b64 vcc, exec, s[10:11]
	s_cbranch_vccz .LBB11_1004
; %bb.997:
	v_cvt_f32_f64_e32 v4, v[22:23]
	v_and_b32_e32 v5, 0x7fffffff, v4
	s_mov_b32 s8, 0x47800000
	v_cmp_gt_u32_e32 vcc, s8, v5
	v_mov_b32_e32 v6, 0x80
	s_and_saveexec_b64 s[8:9], vcc
	s_cbranch_execz .LBB11_1003
; %bb.998:
	s_mov_b32 s10, 0x37ffffff
	v_cmp_lt_u32_e32 vcc, s10, v5
	s_mov_b64 s[10:11], 0
                                        ; implicit-def: $vgpr5
	s_and_saveexec_b64 s[12:13], vcc
	s_xor_b64 s[12:13], exec, s[12:13]
	s_cbranch_execz .LBB11_1127
; %bb.999:
	v_bfe_u32 v5, v4, 21, 1
	s_mov_b32 s14, 0x88fffff
	v_add3_u32 v5, v4, v5, s14
	s_mov_b64 s[10:11], exec
	v_lshrrev_b32_e32 v5, 21, v5
	s_or_saveexec_b64 s[12:13], s[12:13]
                                        ; implicit-def: $sgpr14
	s_xor_b64 exec, exec, s[12:13]
	s_cbranch_execnz .LBB11_1128
.LBB11_1000:
	s_or_b64 exec, exec, s[12:13]
	v_mov_b32_e32 v6, s14
	s_and_saveexec_b64 s[12:13], s[10:11]
.LBB11_1001:
	v_lshrrev_b32_e32 v4, 24, v4
	s_movk_i32 s10, 0x80
	v_and_or_b32 v6, v4, s10, v5
.LBB11_1002:
	s_or_b64 exec, exec, s[12:13]
.LBB11_1003:
	s_or_b64 exec, exec, s[8:9]
	s_mov_b64 s[8:9], 0
	global_store_byte v[2:3], v6, off
.LBB11_1004:
	s_and_b64 vcc, exec, s[8:9]
	s_cbranch_vccz .LBB11_1014
; %bb.1005:
	v_cvt_f32_f64_e32 v4, v[22:23]
	v_and_b32_e32 v6, 0x7fffffff, v4
	s_mov_b32 s8, 0x43f00000
	v_cmp_gt_u32_e32 vcc, s8, v6
                                        ; implicit-def: $vgpr5
	s_and_saveexec_b64 s[8:9], vcc
	s_xor_b64 s[8:9], exec, s[8:9]
	s_cbranch_execz .LBB11_1011
; %bb.1006:
	s_mov_b32 s10, 0x3c7fffff
	v_cmp_lt_u32_e32 vcc, s10, v6
                                        ; implicit-def: $vgpr5
	s_and_saveexec_b64 s[10:11], vcc
	s_xor_b64 s[10:11], exec, s[10:11]
; %bb.1007:
	v_bfe_u32 v5, v4, 20, 1
	s_mov_b32 s12, 0x407ffff
	v_add3_u32 v5, v4, v5, s12
	v_lshrrev_b32_e32 v6, 20, v5
	v_and_b32_e32 v5, 0xff00000, v5
	s_mov_b32 s12, 0x7f00000
	v_mov_b32_e32 v7, 0x7e
	v_cmp_ne_u32_e32 vcc, s12, v5
	v_cndmask_b32_e32 v5, v7, v6, vcc
; %bb.1008:
	s_andn2_saveexec_b64 s[10:11], s[10:11]
; %bb.1009:
	s_mov_b32 s12, 0x46800000
	v_add_f32_e64 v5, |v4|, s12
; %bb.1010:
	s_or_b64 exec, exec, s[10:11]
                                        ; implicit-def: $vgpr6
.LBB11_1011:
	s_andn2_saveexec_b64 s[8:9], s[8:9]
; %bb.1012:
	s_mov_b32 s10, 0x7f800000
	v_mov_b32_e32 v5, 0x7e
	v_mov_b32_e32 v7, 0x7f
	v_cmp_lt_u32_e32 vcc, s10, v6
	v_cndmask_b32_e32 v5, v5, v7, vcc
; %bb.1013:
	s_or_b64 exec, exec, s[8:9]
	v_lshrrev_b32_e32 v4, 24, v4
	s_movk_i32 s8, 0x80
	v_and_or_b32 v4, v4, s8, v5
	global_store_byte v[2:3], v4, off
.LBB11_1014:
	s_mov_b64 s[8:9], 0
.LBB11_1015:
	s_andn2_b64 vcc, exec, s[8:9]
	s_cbranch_vccnz .LBB11_1025
; %bb.1016:
	v_cvt_f32_f64_e32 v4, v[22:23]
	v_and_b32_e32 v6, 0x7fffffff, v4
	s_mov_b32 s8, 0x47800000
	v_cmp_gt_u32_e32 vcc, s8, v6
                                        ; implicit-def: $vgpr5
	s_and_saveexec_b64 s[8:9], vcc
	s_xor_b64 s[8:9], exec, s[8:9]
	s_cbranch_execz .LBB11_1022
; %bb.1017:
	s_mov_b32 s10, 0x387fffff
	v_cmp_lt_u32_e32 vcc, s10, v6
                                        ; implicit-def: $vgpr5
	s_and_saveexec_b64 s[10:11], vcc
	s_xor_b64 s[10:11], exec, s[10:11]
; %bb.1018:
	v_bfe_u32 v5, v4, 21, 1
	s_mov_b32 s12, 0x80fffff
	v_add3_u32 v5, v4, v5, s12
	v_lshrrev_b32_e32 v5, 21, v5
; %bb.1019:
	s_andn2_saveexec_b64 s[10:11], s[10:11]
; %bb.1020:
	s_mov_b32 s12, 0x43000000
	v_add_f32_e64 v5, |v4|, s12
; %bb.1021:
	s_or_b64 exec, exec, s[10:11]
                                        ; implicit-def: $vgpr6
.LBB11_1022:
	s_andn2_saveexec_b64 s[8:9], s[8:9]
; %bb.1023:
	s_mov_b32 s10, 0x7f800000
	v_mov_b32_e32 v5, 0x7c
	v_mov_b32_e32 v7, 0x7f
	v_cmp_lt_u32_e32 vcc, s10, v6
	v_cndmask_b32_e32 v5, v5, v7, vcc
; %bb.1024:
	s_or_b64 exec, exec, s[8:9]
	v_lshrrev_b32_e32 v4, 24, v4
	s_movk_i32 s8, 0x80
	v_and_or_b32 v4, v4, s8, v5
	global_store_byte v[2:3], v4, off
.LBB11_1025:
	s_mov_b64 s[8:9], 0
	s_mov_b64 s[10:11], -1
.LBB11_1026:
	s_andn2_b64 vcc, exec, s[8:9]
	s_mov_b64 s[8:9], 0
	s_cbranch_vccnz .LBB11_1033
; %bb.1027:
	v_mov_b32_e32 v4, 14
	v_cmp_gt_i16_sdwa s[8:9], s16, v4 src0_sel:BYTE_0 src1_sel:DWORD
	s_mov_b64 s[12:13], -1
	s_and_b64 vcc, exec, s[8:9]
	s_cbranch_vccz .LBB11_1031
; %bb.1028:
	v_mov_b32_e32 v4, 15
	v_cmp_eq_u16_sdwa s[8:9], s16, v4 src0_sel:BYTE_0 src1_sel:DWORD
	s_mov_b64 s[4:5], -1
	s_and_b64 vcc, exec, s[8:9]
	s_cbranch_vccz .LBB11_1030
; %bb.1029:
	v_cvt_f32_f64_e32 v4, v[22:23]
	v_bfe_u32 v5, v4, 16, 1
	s_movk_i32 s4, 0x7fff
	v_add3_u32 v5, v4, v5, s4
	v_lshrrev_b32_e32 v5, 16, v5
	v_mov_b32_e32 v6, 0x7fc0
	v_cmp_o_f32_e32 vcc, v4, v4
	v_cndmask_b32_e32 v4, v6, v5, vcc
	global_store_short v[2:3], v4, off
	s_mov_b64 s[4:5], 0
	s_mov_b64 s[10:11], -1
.LBB11_1030:
	s_mov_b64 s[12:13], 0
.LBB11_1031:
	s_mov_b64 s[8:9], 0
	s_and_b64 vcc, exec, s[12:13]
	s_cbranch_vccz .LBB11_1033
; %bb.1032:
	v_mov_b32_e32 v4, 11
	v_cmp_ne_u16_sdwa s[4:5], s16, v4 src0_sel:BYTE_0 src1_sel:DWORD
	s_mov_b64 s[8:9], -1
.LBB11_1033:
	s_and_b64 vcc, exec, s[4:5]
	s_cbranch_vccnz .LBB11_1122
; %bb.1034:
	s_andn2_b64 vcc, exec, s[8:9]
	s_cbranch_vccnz .LBB11_1036
.LBB11_1035:
	v_cmp_neq_f64_e32 vcc, 0, v[22:23]
	v_cndmask_b32_e64 v4, 0, 1, vcc
	s_mov_b64 s[10:11], -1
	global_store_byte v[2:3], v4, off
.LBB11_1036:
	s_branch .LBB11_880
.LBB11_1037:
	v_mov_b32_e32 v4, 5
	v_cmp_lt_i16_sdwa s[8:9], s16, v4 src0_sel:BYTE_0 src1_sel:DWORD
	s_mov_b64 s[4:5], -1
	s_and_b64 vcc, exec, s[8:9]
	s_cbranch_vccnz .LBB11_1058
; %bb.1038:
	v_mov_b32_e32 v4, 8
	v_cmp_lt_i16_sdwa s[8:9], s16, v4 src0_sel:BYTE_0 src1_sel:DWORD
	s_and_b64 vcc, exec, s[8:9]
	s_cbranch_vccnz .LBB11_1048
; %bb.1039:
	v_mov_b32_e32 v4, 9
	v_cmp_lt_i16_sdwa s[8:9], s16, v4 src0_sel:BYTE_0 src1_sel:DWORD
	s_and_b64 vcc, exec, s[8:9]
	s_cbranch_vccnz .LBB11_1045
; %bb.1040:
	v_cmp_gt_i16_sdwa s[8:9], s16, v4 src0_sel:BYTE_0 src1_sel:DWORD
	s_and_b64 vcc, exec, s[8:9]
	s_cbranch_vccz .LBB11_1042
; %bb.1041:
	v_mov_b32_e32 v24, 0
	v_mov_b32_e32 v25, v24
	global_store_dwordx4 v[2:3], v[22:25], off
	s_mov_b64 s[4:5], 0
.LBB11_1042:
	s_andn2_b64 vcc, exec, s[4:5]
	s_cbranch_vccnz .LBB11_1044
; %bb.1043:
	v_cvt_f32_f64_e32 v4, v[22:23]
	v_mov_b32_e32 v5, 0
	global_store_dwordx2 v[2:3], v[4:5], off
.LBB11_1044:
	s_mov_b64 s[4:5], 0
.LBB11_1045:
	s_andn2_b64 vcc, exec, s[4:5]
	s_cbranch_vccnz .LBB11_1047
; %bb.1046:
	v_cvt_f32_f64_e32 v4, v[22:23]
	v_cvt_f16_f32_e32 v4, v4
	global_store_dword v[2:3], v4, off
.LBB11_1047:
	s_mov_b64 s[4:5], 0
.LBB11_1048:
	s_andn2_b64 vcc, exec, s[4:5]
	s_cbranch_vccnz .LBB11_1057
; %bb.1049:
	v_mov_b32_e32 v4, 6
	v_cmp_lt_i16_sdwa s[8:9], s16, v4 src0_sel:BYTE_0 src1_sel:DWORD
	s_mov_b64 s[4:5], -1
	s_and_b64 vcc, exec, s[8:9]
	s_cbranch_vccnz .LBB11_1055
; %bb.1050:
	v_cmp_gt_i16_sdwa s[8:9], s16, v4 src0_sel:BYTE_0 src1_sel:DWORD
	s_and_b64 vcc, exec, s[8:9]
	s_cbranch_vccz .LBB11_1052
; %bb.1051:
	global_store_dwordx2 v[2:3], v[22:23], off
	s_mov_b64 s[4:5], 0
.LBB11_1052:
	s_andn2_b64 vcc, exec, s[4:5]
	s_cbranch_vccnz .LBB11_1054
; %bb.1053:
	v_cvt_f32_f64_e32 v4, v[22:23]
	global_store_dword v[2:3], v4, off
.LBB11_1054:
	s_mov_b64 s[4:5], 0
.LBB11_1055:
	s_andn2_b64 vcc, exec, s[4:5]
	s_cbranch_vccnz .LBB11_1057
; %bb.1056:
	v_cvt_f32_f64_e32 v4, v[22:23]
	v_cvt_f16_f32_e32 v4, v4
	global_store_short v[2:3], v4, off
.LBB11_1057:
	s_mov_b64 s[4:5], 0
.LBB11_1058:
	s_andn2_b64 vcc, exec, s[4:5]
	s_cbranch_vccnz .LBB11_1074
; %bb.1059:
	v_mov_b32_e32 v4, 2
	v_cmp_lt_i16_sdwa s[8:9], s16, v4 src0_sel:BYTE_0 src1_sel:DWORD
	s_mov_b64 s[4:5], -1
	s_and_b64 vcc, exec, s[8:9]
	s_cbranch_vccnz .LBB11_1069
; %bb.1060:
	v_mov_b32_e32 v4, 3
	v_cmp_lt_i16_sdwa s[8:9], s16, v4 src0_sel:BYTE_0 src1_sel:DWORD
	s_and_b64 vcc, exec, s[8:9]
	s_cbranch_vccnz .LBB11_1066
; %bb.1061:
	v_cmp_gt_i16_sdwa s[8:9], s16, v4 src0_sel:BYTE_0 src1_sel:DWORD
	s_and_b64 vcc, exec, s[8:9]
	s_cbranch_vccz .LBB11_1063
; %bb.1062:
	v_trunc_f64_e32 v[4:5], v[22:23]
	s_movk_i32 s4, 0xffe0
	v_ldexp_f64 v[6:7], v[4:5], s4
	v_floor_f64_e32 v[6:7], v[6:7]
	v_fmac_f64_e32 v[4:5], 0xc1f00000, v[6:7]
	v_cvt_i32_f64_e32 v9, v[6:7]
	v_cvt_u32_f64_e32 v8, v[4:5]
	global_store_dwordx2 v[2:3], v[8:9], off
	s_mov_b64 s[4:5], 0
.LBB11_1063:
	s_andn2_b64 vcc, exec, s[4:5]
	s_cbranch_vccnz .LBB11_1065
; %bb.1064:
	v_cvt_i32_f64_e32 v4, v[22:23]
	global_store_dword v[2:3], v4, off
.LBB11_1065:
	s_mov_b64 s[4:5], 0
.LBB11_1066:
	s_andn2_b64 vcc, exec, s[4:5]
	s_cbranch_vccnz .LBB11_1068
; %bb.1067:
	v_cvt_i32_f64_e32 v4, v[22:23]
	global_store_short v[2:3], v4, off
.LBB11_1068:
	s_mov_b64 s[4:5], 0
.LBB11_1069:
	s_andn2_b64 vcc, exec, s[4:5]
	s_cbranch_vccnz .LBB11_1074
; %bb.1070:
	v_mov_b32_e32 v4, 0
	v_cmp_gt_i16_sdwa s[8:9], s16, v4 src0_sel:BYTE_0 src1_sel:DWORD
	s_mov_b64 s[4:5], -1
	s_and_b64 vcc, exec, s[8:9]
	s_cbranch_vccz .LBB11_1072
; %bb.1071:
	v_cvt_i32_f64_e32 v4, v[22:23]
	global_store_byte v[2:3], v4, off
	s_mov_b64 s[4:5], 0
.LBB11_1072:
	s_andn2_b64 vcc, exec, s[4:5]
	s_cbranch_vccnz .LBB11_1074
; %bb.1073:
	v_trunc_f64_e32 v[4:5], v[22:23]
	s_movk_i32 s4, 0xffe0
	v_ldexp_f64 v[6:7], v[4:5], s4
	v_floor_f64_e32 v[6:7], v[6:7]
	v_fmac_f64_e32 v[4:5], 0xc1f00000, v[6:7]
	v_cvt_u32_f64_e32 v4, v[4:5]
	global_store_byte v[2:3], v4, off
.LBB11_1074:
	s_branch .LBB11_881
.LBB11_1075:
	s_mov_b64 s[4:5], 0
	s_mov_b64 s[8:9], 0
                                        ; implicit-def: $vgpr7
                                        ; implicit-def: $vgpr4_vgpr5
.LBB11_1076:
	s_and_b64 s[48:49], s[8:9], exec
	s_andn2_b64 s[8:9], s[40:41], exec
	s_and_b64 s[6:7], s[6:7], exec
	s_and_b64 s[4:5], s[4:5], exec
	s_or_b64 s[40:41], s[8:9], s[6:7]
.LBB11_1077:
	s_or_b64 exec, exec, s[42:43]
	s_and_saveexec_b64 s[6:7], s[40:41]
	s_cbranch_execz .LBB11_1080
; %bb.1078:
	; divergent unreachable
	s_or_b64 exec, exec, s[6:7]
	s_and_saveexec_b64 s[6:7], s[48:49]
	s_xor_b64 s[6:7], exec, s[6:7]
	s_cbranch_execnz .LBB11_1081
.LBB11_1079:
	s_or_b64 exec, exec, s[6:7]
	s_and_saveexec_b64 s[6:7], s[4:5]
	s_cbranch_execnz .LBB11_1082
	s_branch .LBB11_1119
.LBB11_1080:
	s_or_b64 exec, exec, s[6:7]
	s_and_saveexec_b64 s[6:7], s[48:49]
	s_xor_b64 s[6:7], exec, s[6:7]
	s_cbranch_execz .LBB11_1079
.LBB11_1081:
	v_cmp_neq_f64_e32 vcc, 0, v[0:1]
	v_cndmask_b32_e64 v2, 0, 1, vcc
	global_store_byte v[4:5], v2, off
	s_or_b64 exec, exec, s[6:7]
	s_and_saveexec_b64 s[6:7], s[4:5]
	s_cbranch_execz .LBB11_1119
.LBB11_1082:
	v_cmp_gt_i16_e32 vcc, 5, v7
	s_mov_b64 s[4:5], -1
	s_cbranch_vccnz .LBB11_1103
; %bb.1083:
	v_cmp_gt_i16_e32 vcc, 8, v7
	s_cbranch_vccnz .LBB11_1093
; %bb.1084:
	v_cmp_gt_i16_e32 vcc, 9, v7
	s_cbranch_vccnz .LBB11_1090
; %bb.1085:
	v_cmp_lt_i16_e32 vcc, 9, v7
	s_cbranch_vccz .LBB11_1087
; %bb.1086:
	v_mov_b32_e32 v2, 0
	v_mov_b32_e32 v3, v2
	global_store_dwordx4 v[4:5], v[0:3], off
	s_mov_b64 s[4:5], 0
.LBB11_1087:
	s_andn2_b64 vcc, exec, s[4:5]
	s_cbranch_vccnz .LBB11_1089
; %bb.1088:
	v_cvt_f32_f64_e32 v2, v[0:1]
	v_mov_b32_e32 v3, 0
	global_store_dwordx2 v[4:5], v[2:3], off
.LBB11_1089:
	s_mov_b64 s[4:5], 0
.LBB11_1090:
	s_andn2_b64 vcc, exec, s[4:5]
	s_cbranch_vccnz .LBB11_1092
; %bb.1091:
	v_cvt_f32_f64_e32 v2, v[0:1]
	v_cvt_f16_f32_e32 v2, v2
	global_store_dword v[4:5], v2, off
.LBB11_1092:
	s_mov_b64 s[4:5], 0
.LBB11_1093:
	s_andn2_b64 vcc, exec, s[4:5]
	s_cbranch_vccnz .LBB11_1102
; %bb.1094:
	v_cmp_gt_i16_e32 vcc, 6, v7
	s_mov_b64 s[4:5], -1
	s_cbranch_vccnz .LBB11_1100
; %bb.1095:
	v_cmp_lt_i16_e32 vcc, 6, v7
	s_cbranch_vccz .LBB11_1097
; %bb.1096:
	global_store_dwordx2 v[4:5], v[0:1], off
	s_mov_b64 s[4:5], 0
.LBB11_1097:
	s_andn2_b64 vcc, exec, s[4:5]
	s_cbranch_vccnz .LBB11_1099
; %bb.1098:
	v_cvt_f32_f64_e32 v2, v[0:1]
	global_store_dword v[4:5], v2, off
.LBB11_1099:
	s_mov_b64 s[4:5], 0
.LBB11_1100:
	s_andn2_b64 vcc, exec, s[4:5]
	s_cbranch_vccnz .LBB11_1102
; %bb.1101:
	v_cvt_f32_f64_e32 v2, v[0:1]
	v_cvt_f16_f32_e32 v2, v2
	global_store_short v[4:5], v2, off
.LBB11_1102:
	s_mov_b64 s[4:5], 0
.LBB11_1103:
	s_andn2_b64 vcc, exec, s[4:5]
	s_cbranch_vccnz .LBB11_1119
; %bb.1104:
	v_cmp_gt_i16_e32 vcc, 2, v7
	s_mov_b64 s[4:5], -1
	s_cbranch_vccnz .LBB11_1114
; %bb.1105:
	v_cmp_gt_i16_e32 vcc, 3, v7
	s_cbranch_vccnz .LBB11_1111
; %bb.1106:
	v_cmp_lt_i16_e32 vcc, 3, v7
	s_cbranch_vccz .LBB11_1108
; %bb.1107:
	v_trunc_f64_e32 v[2:3], v[0:1]
	s_movk_i32 s4, 0xffe0
	v_ldexp_f64 v[8:9], v[2:3], s4
	v_floor_f64_e32 v[8:9], v[8:9]
	v_fmac_f64_e32 v[2:3], 0xc1f00000, v[8:9]
	v_cvt_i32_f64_e32 v11, v[8:9]
	v_cvt_u32_f64_e32 v10, v[2:3]
	global_store_dwordx2 v[4:5], v[10:11], off
	s_mov_b64 s[4:5], 0
.LBB11_1108:
	s_andn2_b64 vcc, exec, s[4:5]
	s_cbranch_vccnz .LBB11_1110
; %bb.1109:
	v_cvt_i32_f64_e32 v2, v[0:1]
	global_store_dword v[4:5], v2, off
.LBB11_1110:
	s_mov_b64 s[4:5], 0
.LBB11_1111:
	s_andn2_b64 vcc, exec, s[4:5]
	s_cbranch_vccnz .LBB11_1113
; %bb.1112:
	v_cvt_i32_f64_e32 v2, v[0:1]
	global_store_short v[4:5], v2, off
.LBB11_1113:
	s_mov_b64 s[4:5], 0
.LBB11_1114:
	s_andn2_b64 vcc, exec, s[4:5]
	s_cbranch_vccnz .LBB11_1119
; %bb.1115:
	v_cmp_lt_i16_e32 vcc, 0, v7
	s_mov_b64 s[4:5], -1
	s_cbranch_vccz .LBB11_1117
; %bb.1116:
	v_cvt_i32_f64_e32 v2, v[0:1]
	global_store_byte v[4:5], v2, off
	s_mov_b64 s[4:5], 0
.LBB11_1117:
	s_andn2_b64 vcc, exec, s[4:5]
	s_cbranch_vccnz .LBB11_1119
; %bb.1118:
	v_trunc_f64_e32 v[0:1], v[0:1]
	s_movk_i32 s4, 0xffe0
	v_ldexp_f64 v[2:3], v[0:1], s4
	v_floor_f64_e32 v[2:3], v[2:3]
	v_fmac_f64_e32 v[0:1], 0xc1f00000, v[2:3]
	v_cvt_u32_f64_e32 v0, v[0:1]
	global_store_byte v[4:5], v0, off
	s_endpgm
.LBB11_1119:
	s_endpgm
.LBB11_1120:
	s_or_saveexec_b64 s[14:15], s[14:15]
                                        ; implicit-def: $sgpr17
	s_xor_b64 exec, exec, s[14:15]
	s_cbranch_execz .LBB11_987
.LBB11_1121:
	s_mov_b32 s17, 0x46000000
	v_add_f32_e64 v5, |v4|, s17
	v_and_b32_e32 v5, 0xff, v5
	v_cmp_ne_u32_e32 vcc, 0, v5
	s_andn2_b64 s[12:13], s[12:13], exec
	s_and_b64 s[18:19], vcc, exec
	s_mov_b32 s17, 0
	s_or_b64 s[12:13], s[12:13], s[18:19]
	s_or_b64 exec, exec, s[14:15]
	v_mov_b32_e32 v6, s17
	s_and_saveexec_b64 s[14:15], s[12:13]
	s_cbranch_execnz .LBB11_988
	s_branch .LBB11_989
.LBB11_1122:
	s_trap 2
	s_or_b64 s[6:7], s[6:7], exec
	s_cbranch_execz .LBB11_1035
	s_branch .LBB11_1036
.LBB11_1123:
	s_or_saveexec_b64 s[10:11], s[10:11]
                                        ; implicit-def: $sgpr12
	s_xor_b64 exec, exec, s[10:11]
	s_cbranch_execz .LBB11_341
.LBB11_1124:
	s_mov_b32 s12, 0x46000000
	v_add_f32_e64 v3, |v2|, s12
	v_and_b32_e32 v3, 0xff, v3
	v_cmp_ne_u32_e32 vcc, 0, v3
	s_andn2_b64 s[8:9], s[8:9], exec
	s_and_b64 s[14:15], vcc, exec
	s_mov_b32 s12, 0
	s_or_b64 s[8:9], s[8:9], s[14:15]
	s_or_b64 exec, exec, s[10:11]
	v_mov_b32_e32 v6, s12
	s_and_saveexec_b64 s[10:11], s[8:9]
	s_cbranch_execnz .LBB11_342
	s_branch .LBB11_343
.LBB11_1125:
	s_or_saveexec_b64 s[14:15], s[14:15]
                                        ; implicit-def: $sgpr16
	s_xor_b64 exec, exec, s[14:15]
	s_cbranch_execz .LBB11_910
.LBB11_1126:
	s_mov_b32 s16, 0x46000000
	v_add_f32_e64 v3, |v2|, s16
	v_and_b32_e32 v3, 0xff, v3
	v_cmp_ne_u32_e32 vcc, 0, v3
	s_andn2_b64 s[12:13], s[12:13], exec
	s_and_b64 s[18:19], vcc, exec
	s_mov_b32 s16, 0
	s_or_b64 s[12:13], s[12:13], s[18:19]
	s_or_b64 exec, exec, s[14:15]
	v_mov_b32_e32 v6, s16
	s_and_saveexec_b64 s[14:15], s[12:13]
	s_cbranch_execnz .LBB11_911
	s_branch .LBB11_912
.LBB11_1127:
	s_or_saveexec_b64 s[12:13], s[12:13]
                                        ; implicit-def: $sgpr14
	s_xor_b64 exec, exec, s[12:13]
	s_cbranch_execz .LBB11_1000
.LBB11_1128:
	s_mov_b32 s14, 0x42800000
	v_add_f32_e64 v5, |v4|, s14
	v_and_b32_e32 v5, 0xff, v5
	v_cmp_ne_u32_e32 vcc, 0, v5
	s_andn2_b64 s[10:11], s[10:11], exec
	s_and_b64 s[18:19], vcc, exec
	s_mov_b32 s14, 0
	s_or_b64 s[10:11], s[10:11], s[18:19]
	s_or_b64 exec, exec, s[12:13]
	v_mov_b32_e32 v6, s14
	s_and_saveexec_b64 s[12:13], s[10:11]
	s_cbranch_execnz .LBB11_1001
	s_branch .LBB11_1002
.LBB11_1129:
	s_mov_b64 s[8:9], 0
	s_or_b64 s[6:7], s[6:7], exec
	s_trap 2
	s_branch .LBB11_956
.LBB11_1130:
	s_or_saveexec_b64 s[10:11], s[10:11]
                                        ; implicit-def: $sgpr12
	s_xor_b64 exec, exec, s[10:11]
	s_cbranch_execz .LBB11_354
.LBB11_1131:
	s_mov_b32 s12, 0x42800000
	v_add_f32_e64 v3, |v2|, s12
	v_and_b32_e32 v3, 0xff, v3
	v_cmp_ne_u32_e32 vcc, 0, v3
	s_andn2_b64 s[8:9], s[8:9], exec
	s_and_b64 s[14:15], vcc, exec
	s_mov_b32 s12, 0
	s_or_b64 s[8:9], s[8:9], s[14:15]
	s_or_b64 exec, exec, s[10:11]
	v_mov_b32_e32 v6, s12
	s_and_saveexec_b64 s[10:11], s[8:9]
	s_cbranch_execnz .LBB11_355
	s_branch .LBB11_356
.LBB11_1132:
	s_or_saveexec_b64 s[10:11], s[10:11]
                                        ; implicit-def: $sgpr12
	s_xor_b64 exec, exec, s[10:11]
	s_cbranch_execz .LBB11_479
.LBB11_1133:
	s_mov_b32 s12, 0x46000000
	v_add_f32_e64 v3, |v2|, s12
	v_and_b32_e32 v3, 0xff, v3
	v_cmp_ne_u32_e32 vcc, 0, v3
	s_andn2_b64 s[8:9], s[8:9], exec
	s_and_b64 s[14:15], vcc, exec
	s_mov_b32 s12, 0
	s_or_b64 s[8:9], s[8:9], s[14:15]
	s_or_b64 exec, exec, s[10:11]
	v_mov_b32_e32 v7, s12
	s_and_saveexec_b64 s[10:11], s[8:9]
	s_cbranch_execnz .LBB11_480
	s_branch .LBB11_481
.LBB11_1134:
	s_or_saveexec_b64 s[12:13], s[12:13]
                                        ; implicit-def: $sgpr14
	s_xor_b64 exec, exec, s[12:13]
	s_cbranch_execz .LBB11_922
.LBB11_1135:
	s_mov_b32 s14, 0x42800000
	v_add_f32_e64 v3, |v2|, s14
	v_and_b32_e32 v3, 0xff, v3
	v_cmp_ne_u32_e32 vcc, 0, v3
	s_andn2_b64 s[10:11], s[10:11], exec
	s_and_b64 s[16:17], vcc, exec
	s_mov_b32 s14, 0
	s_or_b64 s[10:11], s[10:11], s[16:17]
	s_or_b64 exec, exec, s[12:13]
	v_mov_b32_e32 v6, s14
	s_and_saveexec_b64 s[12:13], s[10:11]
	s_cbranch_execnz .LBB11_923
	s_branch .LBB11_924
.LBB11_1136:
	s_or_saveexec_b64 s[12:13], s[12:13]
                                        ; implicit-def: $sgpr14
	s_xor_b64 exec, exec, s[12:13]
	s_cbranch_execz .LBB11_491
.LBB11_1137:
	s_mov_b32 s14, 0x42800000
	v_add_f32_e64 v3, |v2|, s14
	v_and_b32_e32 v3, 0xff, v3
	v_cmp_ne_u32_e32 vcc, 0, v3
	s_andn2_b64 s[10:11], s[10:11], exec
	s_and_b64 s[16:17], vcc, exec
	s_mov_b32 s14, 0
	s_or_b64 s[10:11], s[10:11], s[16:17]
	s_or_b64 exec, exec, s[12:13]
	v_mov_b32_e32 v7, s14
	s_and_saveexec_b64 s[12:13], s[10:11]
	s_cbranch_execnz .LBB11_492
	s_branch .LBB11_493
	.section	.rodata,"a",@progbits
	.p2align	6, 0x0
	.amdhsa_kernel _ZN2at6native32elementwise_kernel_manual_unrollILi128ELi4EZNS0_15gpu_kernel_implIZZZNS0_12_GLOBAL__N_130modified_bessel_k0_kernel_cudaERNS_18TensorIteratorBaseEENKUlvE_clEvENKUlvE_clEvEUldE_EEvS5_RKT_EUlibE0_EEviT1_
		.amdhsa_group_segment_fixed_size 0
		.amdhsa_private_segment_fixed_size 0
		.amdhsa_kernarg_size 360
		.amdhsa_user_sgpr_count 8
		.amdhsa_user_sgpr_private_segment_buffer 1
		.amdhsa_user_sgpr_dispatch_ptr 0
		.amdhsa_user_sgpr_queue_ptr 0
		.amdhsa_user_sgpr_kernarg_segment_ptr 1
		.amdhsa_user_sgpr_dispatch_id 0
		.amdhsa_user_sgpr_flat_scratch_init 1
		.amdhsa_user_sgpr_kernarg_preload_length 0
		.amdhsa_user_sgpr_kernarg_preload_offset 0
		.amdhsa_user_sgpr_private_segment_size 0
		.amdhsa_uses_dynamic_stack 0
		.amdhsa_system_sgpr_private_segment_wavefront_offset 0
		.amdhsa_system_sgpr_workgroup_id_x 1
		.amdhsa_system_sgpr_workgroup_id_y 0
		.amdhsa_system_sgpr_workgroup_id_z 0
		.amdhsa_system_sgpr_workgroup_info 0
		.amdhsa_system_vgpr_workitem_id 0
		.amdhsa_next_free_vgpr 40
		.amdhsa_next_free_sgpr 78
		.amdhsa_accum_offset 40
		.amdhsa_reserve_vcc 1
		.amdhsa_reserve_flat_scratch 1
		.amdhsa_float_round_mode_32 0
		.amdhsa_float_round_mode_16_64 0
		.amdhsa_float_denorm_mode_32 3
		.amdhsa_float_denorm_mode_16_64 3
		.amdhsa_dx10_clamp 1
		.amdhsa_ieee_mode 1
		.amdhsa_fp16_overflow 0
		.amdhsa_tg_split 0
		.amdhsa_exception_fp_ieee_invalid_op 0
		.amdhsa_exception_fp_denorm_src 0
		.amdhsa_exception_fp_ieee_div_zero 0
		.amdhsa_exception_fp_ieee_overflow 0
		.amdhsa_exception_fp_ieee_underflow 0
		.amdhsa_exception_fp_ieee_inexact 0
		.amdhsa_exception_int_div_zero 0
	.end_amdhsa_kernel
	.section	.text._ZN2at6native32elementwise_kernel_manual_unrollILi128ELi4EZNS0_15gpu_kernel_implIZZZNS0_12_GLOBAL__N_130modified_bessel_k0_kernel_cudaERNS_18TensorIteratorBaseEENKUlvE_clEvENKUlvE_clEvEUldE_EEvS5_RKT_EUlibE0_EEviT1_,"axG",@progbits,_ZN2at6native32elementwise_kernel_manual_unrollILi128ELi4EZNS0_15gpu_kernel_implIZZZNS0_12_GLOBAL__N_130modified_bessel_k0_kernel_cudaERNS_18TensorIteratorBaseEENKUlvE_clEvENKUlvE_clEvEUldE_EEvS5_RKT_EUlibE0_EEviT1_,comdat
.Lfunc_end11:
	.size	_ZN2at6native32elementwise_kernel_manual_unrollILi128ELi4EZNS0_15gpu_kernel_implIZZZNS0_12_GLOBAL__N_130modified_bessel_k0_kernel_cudaERNS_18TensorIteratorBaseEENKUlvE_clEvENKUlvE_clEvEUldE_EEvS5_RKT_EUlibE0_EEviT1_, .Lfunc_end11-_ZN2at6native32elementwise_kernel_manual_unrollILi128ELi4EZNS0_15gpu_kernel_implIZZZNS0_12_GLOBAL__N_130modified_bessel_k0_kernel_cudaERNS_18TensorIteratorBaseEENKUlvE_clEvENKUlvE_clEvEUldE_EEvS5_RKT_EUlibE0_EEviT1_
                                        ; -- End function
	.section	.AMDGPU.csdata,"",@progbits
; Kernel info:
; codeLenInByte = 23964
; NumSgprs: 84
; NumVgprs: 40
; NumAgprs: 0
; TotalNumVgprs: 40
; ScratchSize: 0
; MemoryBound: 0
; FloatMode: 240
; IeeeMode: 1
; LDSByteSize: 0 bytes/workgroup (compile time only)
; SGPRBlocks: 10
; VGPRBlocks: 4
; NumSGPRsForWavesPerEU: 84
; NumVGPRsForWavesPerEU: 40
; AccumOffset: 40
; Occupancy: 8
; WaveLimiterHint : 1
; COMPUTE_PGM_RSRC2:SCRATCH_EN: 0
; COMPUTE_PGM_RSRC2:USER_SGPR: 8
; COMPUTE_PGM_RSRC2:TRAP_HANDLER: 0
; COMPUTE_PGM_RSRC2:TGID_X_EN: 1
; COMPUTE_PGM_RSRC2:TGID_Y_EN: 0
; COMPUTE_PGM_RSRC2:TGID_Z_EN: 0
; COMPUTE_PGM_RSRC2:TIDIG_COMP_CNT: 0
; COMPUTE_PGM_RSRC3_GFX90A:ACCUM_OFFSET: 9
; COMPUTE_PGM_RSRC3_GFX90A:TG_SPLIT: 0
	.text
	.p2align	2                               ; -- Begin function _ZN2at6native25elementwise_kernel_helperILb0EZZZNS0_12_GLOBAL__N_130modified_bessel_k0_kernel_cudaERNS_18TensorIteratorBaseEENKUlvE_clEvENKUlvE0_clEvEUlfE_NS0_6memory8policies11unroll_baseILi256ESt5arrayIPcLm2EE23TrivialOffsetCalculatorILi1EjESF_NS8_15LoadWithoutCastENS8_16StoreWithoutCastELi4ELi1EEEEEvT0_T1_
	.type	_ZN2at6native25elementwise_kernel_helperILb0EZZZNS0_12_GLOBAL__N_130modified_bessel_k0_kernel_cudaERNS_18TensorIteratorBaseEENKUlvE_clEvENKUlvE0_clEvEUlfE_NS0_6memory8policies11unroll_baseILi256ESt5arrayIPcLm2EE23TrivialOffsetCalculatorILi1EjESF_NS8_15LoadWithoutCastENS8_16StoreWithoutCastELi4ELi1EEEEEvT0_T1_,@function
_ZN2at6native25elementwise_kernel_helperILb0EZZZNS0_12_GLOBAL__N_130modified_bessel_k0_kernel_cudaERNS_18TensorIteratorBaseEENKUlvE_clEvENKUlvE0_clEvEUlfE_NS0_6memory8policies11unroll_baseILi256ESt5arrayIPcLm2EE23TrivialOffsetCalculatorILi1EjESF_NS8_15LoadWithoutCastENS8_16StoreWithoutCastELi4ELi1EEEEEvT0_T1_: ; @_ZN2at6native25elementwise_kernel_helperILb0EZZZNS0_12_GLOBAL__N_130modified_bessel_k0_kernel_cudaERNS_18TensorIteratorBaseEENKUlvE_clEvENKUlvE0_clEvEUlfE_NS0_6memory8policies11unroll_baseILi256ESt5arrayIPcLm2EE23TrivialOffsetCalculatorILi1EjESF_NS8_15LoadWithoutCastENS8_16StoreWithoutCastELi4ELi1EEEEEvT0_T1_
; %bb.0:
	s_waitcnt vmcnt(0) expcnt(0) lgkmcnt(0)
	v_and_b32_e32 v5, 0x3ff, v31
	s_lshl_b32 s18, s12, 10
	v_cmp_lt_i32_e64 s[4:5], v5, v4
	v_mov_b32_e32 v13, 0
	v_or_b32_e32 v10, s18, v5
	v_mov_b32_e32 v14, 0
	v_mov_b32_e32 v6, v5
	s_and_saveexec_b64 s[6:7], s[4:5]
	s_cbranch_execz .LBB12_2
; %bb.1:
	v_mov_b32_e32 v11, 0
	v_lshlrev_b64 v[6:7], 2, v[10:11]
	v_add_co_u32_e32 v6, vcc, v2, v6
	v_addc_co_u32_e32 v7, vcc, v3, v7, vcc
	flat_load_dword v14, v[6:7]
	v_add_u32_e32 v6, 0x100, v5
.LBB12_2:
	s_or_b64 exec, exec, s[6:7]
	v_cmp_lt_i32_e32 vcc, v6, v4
	s_and_saveexec_b64 s[6:7], vcc
	s_cbranch_execz .LBB12_4
; %bb.3:
	v_add_u32_e32 v8, s18, v6
	v_mov_b32_e32 v9, 0
	v_lshlrev_b64 v[8:9], 2, v[8:9]
	v_add_co_u32_e32 v8, vcc, v2, v8
	v_addc_co_u32_e32 v9, vcc, v3, v9, vcc
	flat_load_dword v13, v[8:9]
	v_add_u32_e32 v6, 0x100, v6
.LBB12_4:
	s_or_b64 exec, exec, s[6:7]
	v_cmp_lt_i32_e32 vcc, v6, v4
	v_mov_b32_e32 v11, 0
	v_mov_b32_e32 v12, 0
	s_and_saveexec_b64 s[6:7], vcc
	s_cbranch_execnz .LBB12_7
; %bb.5:
	s_or_b64 exec, exec, s[6:7]
	v_cmp_lt_i32_e32 vcc, v6, v4
	s_and_saveexec_b64 s[6:7], vcc
	s_cbranch_execnz .LBB12_8
.LBB12_6:
	s_or_b64 exec, exec, s[6:7]
                                        ; implicit-def: $vgpr6_vgpr7_vgpr8_vgpr9
	s_and_saveexec_b64 s[8:9], s[4:5]
	s_cbranch_execnz .LBB12_9
	s_branch .LBB12_22
.LBB12_7:
	v_add_u32_e32 v8, s18, v6
	v_mov_b32_e32 v9, 0
	v_lshlrev_b64 v[8:9], 2, v[8:9]
	v_add_co_u32_e32 v8, vcc, v2, v8
	v_addc_co_u32_e32 v9, vcc, v3, v9, vcc
	flat_load_dword v12, v[8:9]
	v_add_u32_e32 v6, 0x100, v6
	s_or_b64 exec, exec, s[6:7]
	v_cmp_lt_i32_e32 vcc, v6, v4
	s_and_saveexec_b64 s[6:7], vcc
	s_cbranch_execz .LBB12_6
.LBB12_8:
	v_add_u32_e32 v6, s18, v6
	v_mov_b32_e32 v7, 0
	v_lshlrev_b64 v[6:7], 2, v[6:7]
	v_add_co_u32_e32 v2, vcc, v2, v6
	v_addc_co_u32_e32 v3, vcc, v3, v7, vcc
	flat_load_dword v11, v[2:3]
	s_or_b64 exec, exec, s[6:7]
                                        ; implicit-def: $vgpr6_vgpr7_vgpr8_vgpr9
	s_and_saveexec_b64 s[8:9], s[4:5]
	s_cbranch_execz .LBB12_22
.LBB12_9:
	s_waitcnt vmcnt(0) lgkmcnt(0)
	v_cmp_neq_f32_e32 vcc, 0, v14
	v_mov_b32_e32 v6, 0x7f800000
	s_and_saveexec_b64 s[10:11], vcc
	s_cbranch_execz .LBB12_21
; %bb.10:
	v_cmp_ngt_f32_e32 vcc, 0, v14
	v_mov_b32_e32 v6, 0x7fc00000
	s_and_saveexec_b64 s[12:13], vcc
	s_cbranch_execz .LBB12_20
; %bb.11:
	v_cmp_ge_f32_e32 vcc, 2.0, v14
                                        ; implicit-def: $vgpr6
	s_and_saveexec_b64 s[6:7], vcc
	s_xor_b64 s[14:15], exec, s[6:7]
	s_cbranch_execz .LBB12_17
; %bb.12:
	s_mov_b32 s6, 0x41000000
	v_cmp_ge_f32_e32 vcc, s6, v14
                                        ; implicit-def: $vgpr2
	s_and_saveexec_b64 s[6:7], vcc
	s_xor_b64 s[6:7], exec, s[6:7]
	s_cbranch_execz .LBB12_14
; %bb.13:
	v_fma_f32 v2, v14, 0.5, -2.0
	v_mov_b32_e32 v3, 0x24199b15
	v_fmac_f32_e32 v3, 0xa2a2e5b9, v2
	v_mov_b32_e32 v6, 0x22a2e5b9
	v_fmac_f32_e32 v6, v2, v3
	v_add_f32_e32 v6, 0xa58c275c, v6
	v_fma_f32 v3, v2, v6, -v3
	v_add_f32_e32 v3, 0x26f736c5, v3
	v_fma_f32 v6, v2, v3, -v6
	;; [unrolled: 2-line block ×23, first 2 shown]
	v_mul_f32_e32 v7, 0x3fb8aa3b, v14
	v_add_f32_e32 v3, 0x3d49f456, v3
	s_mov_b32 s16, 0x3fb8aa3b
	v_rndne_f32_e32 v8, v7
	v_fma_f32 v6, v2, v3, -v6
	v_sub_f32_e32 v9, v7, v8
	v_fma_f32 v7, v14, s16, -v7
	v_add_f32_e32 v6, 0xbdc25b82, v6
	v_fmac_f32_e32 v7, 0x32a5705f, v14
	v_fma_f32 v3, v2, v6, -v3
	v_add_f32_e32 v7, v9, v7
	v_add_f32_e32 v3, 0x3e2fbd64, v3
	v_exp_f32_e32 v7, v7
	v_cvt_i32_f32_e32 v8, v8
	v_fma_f32 v6, v2, v3, -v6
	v_add_f32_e32 v6, 0xbe9bff5e, v6
	v_fma_f32 v2, v2, v6, -v3
	s_mov_b32 s16, 0xc2ce8ed0
	v_add_f32_e32 v2, 0x3f2d4275, v2
	v_ldexp_f32 v6, v7, v8
	v_cmp_ngt_f32_e32 vcc, s16, v14
	s_mov_b32 s16, 0x42b17218
	v_cndmask_b32_e32 v6, 0, v6, vcc
	v_mov_b32_e32 v7, 0x7f800000
	v_cmp_nlt_f32_e32 vcc, s16, v14
	v_sub_f32_e32 v2, v2, v3
	v_cndmask_b32_e32 v6, v7, v6, vcc
	v_mul_f32_e32 v2, 0.5, v2
	v_mul_f32_e32 v2, v6, v2
.LBB12_14:
	s_andn2_saveexec_b64 s[16:17], s[6:7]
	s_cbranch_execz .LBB12_16
; %bb.15:
	s_mov_b32 s19, 0x42000000
	v_div_scale_f32 v2, s[6:7], v14, v14, s19
	v_rcp_f32_e32 v3, v2
	v_div_scale_f32 v6, vcc, s19, v14, s19
	s_mov_b32 s6, 0x3fb8aa3b
	v_fma_f32 v7, -v2, v3, 1.0
	v_fmac_f32_e32 v3, v7, v3
	v_mul_f32_e32 v7, v6, v3
	v_fma_f32 v8, -v2, v7, v6
	v_fmac_f32_e32 v7, v8, v3
	v_fma_f32 v2, -v2, v7, v6
	v_div_fmas_f32 v2, v2, v3, v7
	v_div_fixup_f32 v2, v2, v14, s19
	v_add_f32_e32 v2, -2.0, v2
	v_mov_b32_e32 v3, 0xa2b236d3
	v_fmac_f32_e32 v3, 0xa3056dbb, v2
	v_mov_b32_e32 v6, 0x23056dbb
	v_fmac_f32_e32 v6, v2, v3
	v_add_f32_e32 v6, 0x244df0c1, v6
	v_fma_f32 v3, v2, v6, -v3
	v_add_f32_e32 v3, 0x241f9ee8, v3
	v_fma_f32 v6, v2, v3, -v6
	v_add_f32_e32 v6, 0xa5a3005d, v6
	v_fma_f32 v3, v2, v6, -v3
	v_add_f32_e32 v3, 0xa5c5773f, v3
	v_fma_f32 v6, v2, v3, -v6
	v_add_f32_e32 v6, 0x26ff73ed, v6
	v_fma_f32 v3, v2, v6, -v3
	v_add_f32_e32 v3, 0x2789548d, v3
	v_fma_f32 v6, v2, v3, -v6
	v_add_f32_e32 v6, 0xa82c1ff4, v6
	v_fma_f32 v3, v2, v6, -v3
	v_add_f32_e32 v3, 0xa93aecce, v3
	v_fma_f32 v6, v2, v3, -v6
	v_add_f32_e32 v6, 0x288ab7f8, v6
	v_fma_f32 v3, v2, v6, -v3
	v_add_f32_e32 v3, 0x2ad8e463, v3
	v_fma_f32 v6, v2, v3, -v6
	v_add_f32_e32 v6, 0x2b4a1a40, v6
	v_fma_f32 v3, v2, v6, -v3
	v_add_f32_e32 v3, 0xabfc8218, v3
	v_fma_f32 v6, v2, v3, -v6
	v_add_f32_e32 v6, 0xad687eba, v6
	v_fma_f32 v3, v2, v6, -v3
	v_add_f32_e32 v3, 0xae0a88e8, v3
	v_fma_f32 v6, v2, v3, -v6
	v_add_f32_e32 v6, 0x2d5127f5, v6
	v_fma_f32 v3, v2, v6, -v3
	v_add_f32_e32 v3, 0x3007ce66, v3
	v_fma_f32 v6, v2, v3, -v6
	v_add_f32_e32 v6, 0x31696325, v6
	v_fma_f32 v3, v2, v6, -v3
	v_add_f32_e32 v3, 0x32c2b494, v3
	v_mul_f32_e32 v7, 0x3fb8aa3b, v14
	v_fma_f32 v6, v2, v3, -v6
	v_rndne_f32_e32 v8, v7
	v_add_f32_e32 v6, 0x345c003f, v6
	v_sub_f32_e32 v9, v7, v8
	v_fma_f32 v7, v14, s6, -v7
	v_fma_f32 v3, v2, v6, -v3
	v_fmac_f32_e32 v7, 0x32a5705f, v14
	v_add_f32_e32 v3, 0x3642095e, v3
	v_add_f32_e32 v7, v9, v7
	v_fma_f32 v6, v2, v3, -v6
	v_exp_f32_e32 v7, v7
	v_cvt_i32_f32_e32 v8, v8
	v_add_f32_e32 v6, 0x38907d1c, v6
	v_fma_f32 v3, v2, v6, -v3
	v_add_f32_e32 v3, 0x3b5ccc65, v3
	s_mov_b32 s6, 0xc2ce8ed0
	v_fma_f32 v2, v2, v3, -v6
	v_ldexp_f32 v3, v7, v8
	v_cmp_ngt_f32_e32 vcc, s6, v14
	s_mov_b32 s6, 0x42b17218
	v_cndmask_b32_e32 v3, 0, v3, vcc
	v_mov_b32_e32 v7, 0x7f800000
	v_cmp_nlt_f32_e32 vcc, s6, v14
	s_mov_b32 s6, 0xf800000
	v_cndmask_b32_e32 v3, v7, v3, vcc
	v_mul_f32_e32 v7, 0x4f800000, v14
	v_cmp_gt_f32_e32 vcc, s6, v14
	v_cndmask_b32_e32 v7, v14, v7, vcc
	v_sqrt_f32_e32 v8, v7
	v_add_f32_e32 v2, 0x3f4df315, v2
	v_sub_f32_e32 v2, v2, v6
	v_mul_f32_e32 v2, 0.5, v2
	v_mul_f32_e32 v2, v3, v2
	v_add_u32_e32 v3, -1, v8
	v_fma_f32 v6, -v3, v8, v7
	v_cmp_ge_f32_e64 s[6:7], 0, v6
	v_add_u32_e32 v6, 1, v8
	v_cndmask_b32_e64 v3, v8, v3, s[6:7]
	v_fma_f32 v8, -v6, v8, v7
	v_cmp_lt_f32_e64 s[6:7], 0, v8
	v_cndmask_b32_e64 v3, v3, v6, s[6:7]
	v_mul_f32_e32 v6, 0x37800000, v3
	v_cndmask_b32_e32 v3, v3, v6, vcc
	v_mov_b32_e32 v6, 0x260
	v_cmp_class_f32_e32 vcc, v7, v6
	v_cndmask_b32_e32 v3, v3, v7, vcc
	v_div_scale_f32 v6, s[6:7], v3, v3, v2
	v_rcp_f32_e32 v7, v6
	v_fma_f32 v8, -v6, v7, 1.0
	v_fmac_f32_e32 v7, v8, v7
	v_div_scale_f32 v8, vcc, v2, v3, v2
	v_mul_f32_e32 v9, v8, v7
	v_fma_f32 v15, -v6, v9, v8
	v_fmac_f32_e32 v9, v15, v7
	v_fma_f32 v6, -v6, v9, v8
	v_div_fmas_f32 v6, v6, v7, v9
	v_div_fixup_f32 v2, v6, v3, v2
.LBB12_16:
	s_or_b64 exec, exec, s[16:17]
	v_cvt_f64_f32_e32 v[8:9], v14
	v_mul_f64 v[8:9], v[8:9], 0.5
	s_mov_b32 s6, 0x55555555
	v_fma_f32 v3, v14, v14, -2.0
	v_frexp_mant_f64_e32 v[14:15], v[8:9]
	s_mov_b32 s7, 0x3fe55555
	v_mov_b32_e32 v16, 0x3ff00000
	v_cmp_gt_f64_e32 vcc, s[6:7], v[14:15]
	v_cndmask_b32_e64 v17, v16, 2.0, vcc
	v_mov_b32_e32 v16, 0
	v_mul_f64 v[14:15], v[14:15], v[16:17]
	v_add_f64 v[16:17], v[14:15], 1.0
	v_rcp_f64_e32 v[18:19], v[16:17]
	v_add_f64 v[22:23], v[16:17], -1.0
	v_add_f64 v[20:21], v[14:15], -1.0
	v_add_f64 v[14:15], v[14:15], -v[22:23]
	v_fma_f64 v[22:23], -v[16:17], v[18:19], 1.0
	v_fmac_f64_e32 v[18:19], v[22:23], v[18:19]
	v_fma_f64 v[22:23], -v[16:17], v[18:19], 1.0
	v_fmac_f64_e32 v[18:19], v[22:23], v[18:19]
	v_mul_f64 v[22:23], v[20:21], v[18:19]
	v_mul_f64 v[24:25], v[16:17], v[22:23]
	v_fma_f64 v[16:17], v[22:23], v[16:17], -v[24:25]
	v_fmac_f64_e32 v[16:17], v[22:23], v[14:15]
	v_add_f64 v[14:15], v[24:25], v[16:17]
	v_mov_b32_e32 v6, 0x293fd856
	v_add_f64 v[26:27], v[20:21], -v[14:15]
	v_fmac_f32_e32 v6, 0x251e770f, v3
	v_mov_b32_e32 v7, 0xa51e770f
	v_add_f64 v[24:25], v[14:15], -v[24:25]
	v_add_f64 v[20:21], v[20:21], -v[26:27]
	v_fmac_f32_e32 v7, v3, v6
	v_add_f64 v[14:15], v[20:21], -v[14:15]
	v_add_f64 v[16:17], v[24:25], -v[16:17]
	v_add_f32_e32 v7, 0x2d3612e2, v7
	v_add_f64 v[14:15], v[16:17], v[14:15]
	v_fma_f32 v6, v3, v7, -v6
	v_add_f64 v[14:15], v[26:27], v[14:15]
	v_add_f32_e32 v6, 0x3102e09b, v6
	v_mul_f64 v[14:15], v[18:19], v[14:15]
	v_fma_f32 v7, v3, v6, -v7
	v_add_f64 v[16:17], v[22:23], v[14:15]
	v_add_f32_e32 v7, 0x348815e7, v7
	v_add_f64 v[18:19], v[16:17], -v[22:23]
	s_mov_b32 s6, 0xbf559e2b
	v_fma_f32 v6, v3, v7, -v6
	v_add_f64 v[14:15], v[14:15], -v[18:19]
	v_mul_f64 v[18:19], v[16:17], v[16:17]
	v_mov_b32_e32 v20, 0x6b47b09a
	v_mov_b32_e32 v21, 0x3fc38538
	s_mov_b32 s7, 0x3fc3ab76
	v_add_f32_e32 v6, 0x37bfc808, v6
	v_fmac_f64_e32 v[20:21], s[6:7], v[18:19]
	v_mov_b32_e32 v22, 0xd7f4df2e
	v_mov_b32_e32 v23, 0x3fc7474d
	v_fma_f32 v7, v3, v6, -v7
	v_fmac_f64_e32 v[22:23], v[18:19], v[20:21]
	v_mov_b32_e32 v20, 0x16291751
	v_mov_b32_e32 v21, 0x3fcc71c0
	v_add_f32_e32 v7, 0x3aa5c174, v7
	v_fmac_f64_e32 v[20:21], v[18:19], v[22:23]
	v_mov_b32_e32 v22, 0x9b27acf1
	v_mov_b32_e32 v23, 0x3fd24924
	v_fma_f32 v6, v3, v7, -v6
	v_fmac_f64_e32 v[22:23], v[18:19], v[20:21]
	v_mov_b32_e32 v20, 0x998ef7b6
	v_mov_b32_e32 v21, 0x3fd99999
	v_add_f32_e32 v6, 0x3d135fb3, v6
	v_fmac_f64_e32 v[20:21], v[18:19], v[22:23]
	v_mov_b32_e32 v22, 0x55555780
	v_mov_b32_e32 v23, 0x3fe55555
	v_fma_f32 v7, v3, v6, -v7
	v_fmac_f64_e32 v[22:23], v[18:19], v[20:21]
	v_ldexp_f64 v[20:21], v[16:17], 1
	v_mul_f64 v[16:17], v[16:17], v[18:19]
	v_add_f32_e32 v7, 0x3eb046c4, v7
	v_mul_f64 v[16:17], v[16:17], v[22:23]
	v_fma_f32 v3, v3, v7, -v6
	v_add_f64 v[18:19], v[20:21], v[16:17]
	v_add_f32_e32 v3, 0xbf090b37, v3
	v_add_f64 v[20:21], v[18:19], -v[20:21]
	v_sub_f32_e32 v3, v3, v6
	v_ldexp_f64 v[14:15], v[14:15], 1
	v_add_f64 v[16:17], v[16:17], -v[20:21]
	v_mul_f32_e32 v3, 0.5, v3
	v_add_f64 v[14:15], v[14:15], v[16:17]
	v_cvt_f64_f32_e32 v[6:7], v3
	v_frexp_exp_i32_f64_e32 v3, v[8:9]
	v_add_f64 v[16:17], v[18:19], v[14:15]
	v_subbrev_co_u32_e32 v3, vcc, 0, v3, vcc
	v_add_f64 v[18:19], v[16:17], -v[18:19]
	s_mov_b32 s6, 0xfefa39ef
	v_add_f64 v[14:15], v[14:15], -v[18:19]
	v_cvt_f64_i32_e32 v[18:19], v3
	s_mov_b32 s7, 0x3fe62e42
	v_mul_f64 v[20:21], v[18:19], s[6:7]
	v_fma_f64 v[22:23], v[18:19], s[6:7], -v[20:21]
	s_mov_b32 s6, 0x3b39803f
	s_mov_b32 s7, 0x3c7abc9e
	v_fmac_f64_e32 v[22:23], s[6:7], v[18:19]
	v_add_f64 v[18:19], v[20:21], v[22:23]
	v_add_f64 v[20:21], v[18:19], -v[20:21]
	v_add_f64 v[20:21], v[22:23], -v[20:21]
	v_add_f64 v[22:23], v[18:19], v[16:17]
	v_add_f64 v[24:25], v[22:23], -v[18:19]
	v_add_f64 v[26:27], v[22:23], -v[24:25]
	;; [unrolled: 1-line block ×4, first 2 shown]
	v_add_f64 v[16:17], v[16:17], v[18:19]
	v_add_f64 v[18:19], v[20:21], v[14:15]
	v_add_f64 v[24:25], v[18:19], -v[20:21]
	v_add_f64 v[26:27], v[18:19], -v[24:25]
	v_add_f64 v[16:17], v[18:19], v[16:17]
	v_add_f64 v[20:21], v[20:21], -v[26:27]
	v_add_f64 v[14:15], v[14:15], -v[24:25]
	v_add_f64 v[18:19], v[22:23], v[16:17]
	v_add_f64 v[14:15], v[14:15], v[20:21]
	v_add_f64 v[20:21], v[18:19], -v[22:23]
	v_add_f64 v[16:17], v[16:17], -v[20:21]
	s_mov_b32 s6, 0
	v_add_f64 v[14:15], v[14:15], v[16:17]
	s_mov_b32 s7, 0x7ff00000
	v_add_f64 v[14:15], v[18:19], v[14:15]
	v_cmp_eq_f64_e32 vcc, s[6:7], v[8:9]
	v_cndmask_b32_e32 v3, v14, v8, vcc
	v_cndmask_b32_e32 v14, v15, v9, vcc
	v_mov_b32_e32 v15, 0xfff00000
	v_cmp_neq_f64_e32 vcc, 0, v[8:9]
	v_cndmask_b32_e32 v9, v15, v14, vcc
	v_cndmask_b32_e32 v8, 0, v3, vcc
	v_cvt_f64_f32_e32 v[2:3], v2
	v_fma_f64 v[2:3], -v[8:9], v[2:3], v[6:7]
	v_cvt_f32_f64_e32 v6, v[2:3]
                                        ; implicit-def: $vgpr14
.LBB12_17:
	s_andn2_saveexec_b64 s[14:15], s[14:15]
	s_cbranch_execz .LBB12_19
; %bb.18:
	s_mov_b32 s16, 0x41000000
	v_div_scale_f32 v2, s[6:7], v14, v14, s16
	v_rcp_f32_e32 v3, v2
	v_div_scale_f32 v6, vcc, s16, v14, s16
	s_mov_b32 s6, 0xbfb8aa3b
	v_fma_f32 v7, -v2, v3, 1.0
	v_fmac_f32_e32 v3, v7, v3
	v_mul_f32_e32 v7, v6, v3
	v_fma_f32 v8, -v2, v7, v6
	v_fmac_f32_e32 v7, v8, v3
	v_fma_f32 v2, -v2, v7, v6
	v_div_fmas_f32 v2, v2, v3, v7
	v_div_fixup_f32 v2, v2, v14, s16
	v_add_f32_e32 v2, -2.0, v2
	v_mov_b32_e32 v3, 0xa397f665
	v_fmac_f32_e32 v3, 0x22c38d2e, v2
	v_mov_b32_e32 v6, 0xa2c38d2e
	v_fmac_f32_e32 v6, v2, v3
	v_add_f32_e32 v6, 0x24704972, v6
	v_fma_f32 v3, v2, v6, -v3
	v_add_f32_e32 v3, 0xa5417ca4, v3
	v_fma_f32 v6, v2, v3, -v6
	;; [unrolled: 2-line block ×17, first 2 shown]
	v_add_f32_e32 v3, 0xb5f5daa4, v3
	v_mul_f32_e32 v7, 0xbfb8aa3b, v14
	v_fma_f32 v6, v2, v3, -v6
	v_rndne_f32_e32 v8, v7
	v_add_f32_e32 v6, 0x376a09fe, v6
	v_sub_f32_e32 v9, v7, v8
	v_fma_f32 v7, v14, s6, -v7
	v_fma_f32 v3, v2, v6, -v3
	v_fmac_f32_e32 v7, 0xb2a5705f, v14
	v_add_f32_e32 v3, 0xb906bcbf, v3
	v_add_f32_e32 v7, v9, v7
	v_fma_f32 v6, v2, v3, -v6
	v_exp_f32_e32 v7, v7
	v_cvt_i32_f32_e32 v8, v8
	v_add_f32_e32 v6, 0x3acdc490, v6
	v_fma_f32 v3, v2, v6, -v3
	v_add_f32_e32 v3, 0xbd00cfb9, v3
	s_mov_b32 s6, 0x42ce8ed0
	v_fma_f32 v2, v2, v3, -v6
	v_ldexp_f32 v3, v7, v8
	v_cmp_nlt_f32_e32 vcc, s6, v14
	s_mov_b32 s6, 0xc2b17218
	v_cndmask_b32_e32 v3, 0, v3, vcc
	v_mov_b32_e32 v7, 0x7f800000
	v_cmp_ngt_f32_e32 vcc, s6, v14
	s_mov_b32 s6, 0xf800000
	v_cndmask_b32_e32 v3, v7, v3, vcc
	v_mul_f32_e32 v7, 0x4f800000, v14
	v_cmp_gt_f32_e32 vcc, s6, v14
	v_cndmask_b32_e32 v7, v14, v7, vcc
	v_sqrt_f32_e32 v8, v7
	v_add_f32_e32 v2, 0x401c2ded, v2
	v_sub_f32_e32 v2, v2, v6
	v_mul_f32_e32 v2, 0.5, v2
	v_mul_f32_e32 v2, v3, v2
	v_add_u32_e32 v3, -1, v8
	v_fma_f32 v6, -v3, v8, v7
	v_cmp_ge_f32_e64 s[6:7], 0, v6
	v_add_u32_e32 v6, 1, v8
	v_cndmask_b32_e64 v3, v8, v3, s[6:7]
	v_fma_f32 v8, -v6, v8, v7
	v_cmp_lt_f32_e64 s[6:7], 0, v8
	v_cndmask_b32_e64 v3, v3, v6, s[6:7]
	v_mul_f32_e32 v6, 0x37800000, v3
	v_cndmask_b32_e32 v3, v3, v6, vcc
	v_mov_b32_e32 v6, 0x260
	v_cmp_class_f32_e32 vcc, v7, v6
	v_cndmask_b32_e32 v3, v3, v7, vcc
	v_div_scale_f32 v6, s[6:7], v3, v3, v2
	v_rcp_f32_e32 v7, v6
	v_fma_f32 v8, -v6, v7, 1.0
	v_fmac_f32_e32 v7, v8, v7
	v_div_scale_f32 v8, vcc, v2, v3, v2
	v_mul_f32_e32 v9, v8, v7
	v_fma_f32 v14, -v6, v9, v8
	v_fmac_f32_e32 v9, v14, v7
	v_fma_f32 v6, -v6, v9, v8
	v_div_fmas_f32 v6, v6, v7, v9
	v_div_fixup_f32 v6, v6, v3, v2
.LBB12_19:
	s_or_b64 exec, exec, s[14:15]
.LBB12_20:
	s_or_b64 exec, exec, s[12:13]
.LBB12_21:
	s_or_b64 exec, exec, s[10:11]
.LBB12_22:
	s_or_b64 exec, exec, s[8:9]
	v_add_u32_e32 v2, 0x100, v5
	v_cmp_lt_i32_e32 vcc, v2, v4
	s_and_saveexec_b64 s[8:9], vcc
	s_cbranch_execz .LBB12_36
; %bb.23:
	s_waitcnt vmcnt(0) lgkmcnt(0)
	v_cmp_neq_f32_e32 vcc, 0, v13
	v_mov_b32_e32 v7, 0x7f800000
	s_and_saveexec_b64 s[10:11], vcc
	s_cbranch_execz .LBB12_35
; %bb.24:
	v_cmp_ngt_f32_e32 vcc, 0, v13
	v_mov_b32_e32 v7, 0x7fc00000
	s_and_saveexec_b64 s[12:13], vcc
	s_cbranch_execz .LBB12_34
; %bb.25:
	v_cmp_ge_f32_e32 vcc, 2.0, v13
	s_and_saveexec_b64 s[6:7], vcc
	s_xor_b64 s[14:15], exec, s[6:7]
	s_cbranch_execz .LBB12_31
; %bb.26:
	s_mov_b32 s6, 0x41000000
	v_cmp_ge_f32_e32 vcc, s6, v13
                                        ; implicit-def: $vgpr3
	s_and_saveexec_b64 s[6:7], vcc
	s_xor_b64 s[6:7], exec, s[6:7]
	s_cbranch_execz .LBB12_28
; %bb.27:
	v_fma_f32 v3, v13, 0.5, -2.0
	v_mov_b32_e32 v7, 0x24199b15
	v_fmac_f32_e32 v7, 0xa2a2e5b9, v3
	v_mov_b32_e32 v14, 0x22a2e5b9
	v_fmac_f32_e32 v14, v3, v7
	v_add_f32_e32 v14, 0xa58c275c, v14
	v_fma_f32 v7, v3, v14, -v7
	v_add_f32_e32 v7, 0x26f736c5, v7
	v_fma_f32 v14, v3, v7, -v14
	v_add_f32_e32 v14, 0xa8528116, v14
	v_fma_f32 v7, v3, v14, -v7
	v_add_f32_e32 v7, 0x29acda32, v7
	v_fma_f32 v14, v3, v7, -v14
	v_add_f32_e32 v14, 0xab08b263, v14
	v_fma_f32 v7, v3, v14, -v7
	v_add_f32_e32 v7, 0x2c4ff17f, v7
	v_fma_f32 v14, v3, v7, -v14
	v_add_f32_e32 v14, 0xad97e4ac, v14
	v_fma_f32 v7, v3, v14, -v7
	v_add_f32_e32 v7, 0x2ed4c5f6, v7
	v_fma_f32 v14, v3, v7, -v14
	v_add_f32_e32 v14, 0xb00ea7f1, v14
	v_fma_f32 v7, v3, v14, -v7
	v_add_f32_e32 v7, 0x3136c81d, v7
	v_fma_f32 v14, v3, v7, -v14
	v_add_f32_e32 v14, 0xb25f57b4, v14
	v_fma_f32 v7, v3, v14, -v7
	v_add_f32_e32 v7, 0x3381dbb5, v7
	v_fma_f32 v14, v3, v7, -v14
	v_add_f32_e32 v14, 0xb48f631c, v14
	v_fma_f32 v7, v3, v14, -v7
	v_add_f32_e32 v7, 0x3595f925, v7
	v_fma_f32 v14, v3, v7, -v14
	v_add_f32_e32 v14, 0xb694337e, v14
	v_fma_f32 v7, v3, v14, -v7
	v_add_f32_e32 v7, 0x3789fac6, v7
	v_fma_f32 v14, v3, v7, -v14
	v_add_f32_e32 v14, 0xb8715933, v14
	v_fma_f32 v7, v3, v14, -v7
	v_add_f32_e32 v7, 0x3945a8dc, v7
	v_fma_f32 v14, v3, v7, -v14
	v_add_f32_e32 v14, 0xba1717e9, v14
	v_fma_f32 v7, v3, v14, -v7
	v_add_f32_e32 v7, 0x3ad6e3ac, v7
	v_fma_f32 v14, v3, v7, -v14
	v_add_f32_e32 v14, 0xbb8db2f1, v14
	v_fma_f32 v7, v3, v14, -v7
	v_add_f32_e32 v7, 0x3c2ccb10, v7
	v_fma_f32 v14, v3, v7, -v14
	v_add_f32_e32 v14, 0xbcc274f8, v14
	v_fma_f32 v7, v3, v14, -v7
	v_mul_f32_e32 v15, 0x3fb8aa3b, v13
	v_add_f32_e32 v7, 0x3d49f456, v7
	s_mov_b32 s16, 0x3fb8aa3b
	v_rndne_f32_e32 v16, v15
	v_fma_f32 v14, v3, v7, -v14
	v_sub_f32_e32 v17, v15, v16
	v_fma_f32 v15, v13, s16, -v15
	v_add_f32_e32 v14, 0xbdc25b82, v14
	v_fmac_f32_e32 v15, 0x32a5705f, v13
	v_fma_f32 v7, v3, v14, -v7
	v_add_f32_e32 v15, v17, v15
	v_add_f32_e32 v7, 0x3e2fbd64, v7
	v_exp_f32_e32 v15, v15
	v_cvt_i32_f32_e32 v16, v16
	v_fma_f32 v14, v3, v7, -v14
	v_add_f32_e32 v14, 0xbe9bff5e, v14
	v_fma_f32 v3, v3, v14, -v7
	s_mov_b32 s16, 0xc2ce8ed0
	v_add_f32_e32 v3, 0x3f2d4275, v3
	v_ldexp_f32 v14, v15, v16
	v_cmp_ngt_f32_e32 vcc, s16, v13
	s_mov_b32 s16, 0x42b17218
	v_cndmask_b32_e32 v14, 0, v14, vcc
	v_mov_b32_e32 v15, 0x7f800000
	v_cmp_nlt_f32_e32 vcc, s16, v13
	v_sub_f32_e32 v3, v3, v7
	v_cndmask_b32_e32 v14, v15, v14, vcc
	v_mul_f32_e32 v3, 0.5, v3
	v_mul_f32_e32 v3, v14, v3
.LBB12_28:
	s_andn2_saveexec_b64 s[16:17], s[6:7]
	s_cbranch_execz .LBB12_30
; %bb.29:
	s_mov_b32 s19, 0x42000000
	v_div_scale_f32 v3, s[6:7], v13, v13, s19
	v_rcp_f32_e32 v7, v3
	v_div_scale_f32 v14, vcc, s19, v13, s19
	s_mov_b32 s6, 0x3fb8aa3b
	v_fma_f32 v15, -v3, v7, 1.0
	v_fmac_f32_e32 v7, v15, v7
	v_mul_f32_e32 v15, v14, v7
	v_fma_f32 v16, -v3, v15, v14
	v_fmac_f32_e32 v15, v16, v7
	v_fma_f32 v3, -v3, v15, v14
	v_div_fmas_f32 v3, v3, v7, v15
	v_div_fixup_f32 v3, v3, v13, s19
	v_add_f32_e32 v3, -2.0, v3
	v_mov_b32_e32 v7, 0xa2b236d3
	v_fmac_f32_e32 v7, 0xa3056dbb, v3
	v_mov_b32_e32 v14, 0x23056dbb
	v_fmac_f32_e32 v14, v3, v7
	v_add_f32_e32 v14, 0x244df0c1, v14
	v_fma_f32 v7, v3, v14, -v7
	v_add_f32_e32 v7, 0x241f9ee8, v7
	v_fma_f32 v14, v3, v7, -v14
	;; [unrolled: 2-line block ×17, first 2 shown]
	v_add_f32_e32 v7, 0x32c2b494, v7
	v_mul_f32_e32 v15, 0x3fb8aa3b, v13
	v_fma_f32 v14, v3, v7, -v14
	v_rndne_f32_e32 v16, v15
	v_add_f32_e32 v14, 0x345c003f, v14
	v_sub_f32_e32 v17, v15, v16
	v_fma_f32 v15, v13, s6, -v15
	v_fma_f32 v7, v3, v14, -v7
	v_fmac_f32_e32 v15, 0x32a5705f, v13
	v_add_f32_e32 v7, 0x3642095e, v7
	v_add_f32_e32 v15, v17, v15
	v_fma_f32 v14, v3, v7, -v14
	v_exp_f32_e32 v15, v15
	v_cvt_i32_f32_e32 v16, v16
	v_add_f32_e32 v14, 0x38907d1c, v14
	v_fma_f32 v7, v3, v14, -v7
	v_add_f32_e32 v7, 0x3b5ccc65, v7
	s_mov_b32 s6, 0xc2ce8ed0
	v_fma_f32 v3, v3, v7, -v14
	v_ldexp_f32 v7, v15, v16
	v_cmp_ngt_f32_e32 vcc, s6, v13
	s_mov_b32 s6, 0x42b17218
	v_cndmask_b32_e32 v7, 0, v7, vcc
	v_mov_b32_e32 v15, 0x7f800000
	v_cmp_nlt_f32_e32 vcc, s6, v13
	s_mov_b32 s6, 0xf800000
	v_cndmask_b32_e32 v7, v15, v7, vcc
	v_mul_f32_e32 v15, 0x4f800000, v13
	v_cmp_gt_f32_e32 vcc, s6, v13
	v_cndmask_b32_e32 v15, v13, v15, vcc
	v_sqrt_f32_e32 v16, v15
	v_add_f32_e32 v3, 0x3f4df315, v3
	v_sub_f32_e32 v3, v3, v14
	v_mul_f32_e32 v3, 0.5, v3
	v_mul_f32_e32 v3, v7, v3
	v_add_u32_e32 v7, -1, v16
	v_fma_f32 v14, -v7, v16, v15
	v_cmp_ge_f32_e64 s[6:7], 0, v14
	v_add_u32_e32 v14, 1, v16
	v_cndmask_b32_e64 v7, v16, v7, s[6:7]
	v_fma_f32 v16, -v14, v16, v15
	v_cmp_lt_f32_e64 s[6:7], 0, v16
	v_cndmask_b32_e64 v7, v7, v14, s[6:7]
	v_mul_f32_e32 v14, 0x37800000, v7
	v_cndmask_b32_e32 v7, v7, v14, vcc
	v_mov_b32_e32 v14, 0x260
	v_cmp_class_f32_e32 vcc, v15, v14
	v_cndmask_b32_e32 v7, v7, v15, vcc
	v_div_scale_f32 v14, s[6:7], v7, v7, v3
	v_rcp_f32_e32 v15, v14
	v_fma_f32 v16, -v14, v15, 1.0
	v_fmac_f32_e32 v15, v16, v15
	v_div_scale_f32 v16, vcc, v3, v7, v3
	v_mul_f32_e32 v17, v16, v15
	v_fma_f32 v18, -v14, v17, v16
	v_fmac_f32_e32 v17, v18, v15
	v_fma_f32 v14, -v14, v17, v16
	v_div_fmas_f32 v14, v14, v15, v17
	v_div_fixup_f32 v3, v14, v7, v3
.LBB12_30:
	s_or_b64 exec, exec, s[16:17]
	v_cvt_f64_f32_e32 v[16:17], v13
	v_mul_f64 v[16:17], v[16:17], 0.5
	s_mov_b32 s6, 0x55555555
	v_frexp_mant_f64_e32 v[18:19], v[16:17]
	s_mov_b32 s7, 0x3fe55555
	v_fma_f32 v7, v13, v13, -2.0
	v_mov_b32_e32 v13, 0x3ff00000
	v_cmp_gt_f64_e32 vcc, s[6:7], v[18:19]
	v_cndmask_b32_e64 v21, v13, 2.0, vcc
	v_mov_b32_e32 v20, 0
	v_mul_f64 v[18:19], v[18:19], v[20:21]
	v_add_f64 v[20:21], v[18:19], 1.0
	v_rcp_f64_e32 v[22:23], v[20:21]
	v_add_f64 v[26:27], v[20:21], -1.0
	v_add_f64 v[24:25], v[18:19], -1.0
	v_add_f64 v[18:19], v[18:19], -v[26:27]
	v_fma_f64 v[26:27], -v[20:21], v[22:23], 1.0
	v_fmac_f64_e32 v[22:23], v[26:27], v[22:23]
	v_fma_f64 v[26:27], -v[20:21], v[22:23], 1.0
	v_fmac_f64_e32 v[22:23], v[26:27], v[22:23]
	v_mul_f64 v[26:27], v[24:25], v[22:23]
	v_mul_f64 v[28:29], v[20:21], v[26:27]
	v_fma_f64 v[20:21], v[26:27], v[20:21], -v[28:29]
	v_fmac_f64_e32 v[20:21], v[26:27], v[18:19]
	v_add_f64 v[18:19], v[28:29], v[20:21]
	v_mov_b32_e32 v14, 0x293fd856
	v_add_f64 v[30:31], v[24:25], -v[18:19]
	v_fmac_f32_e32 v14, 0x251e770f, v7
	v_mov_b32_e32 v15, 0xa51e770f
	v_add_f64 v[28:29], v[18:19], -v[28:29]
	v_add_f64 v[24:25], v[24:25], -v[30:31]
	v_fmac_f32_e32 v15, v7, v14
	v_add_f64 v[18:19], v[24:25], -v[18:19]
	v_add_f64 v[20:21], v[28:29], -v[20:21]
	v_add_f32_e32 v15, 0x2d3612e2, v15
	v_add_f64 v[18:19], v[20:21], v[18:19]
	v_fma_f32 v14, v7, v15, -v14
	v_add_f64 v[18:19], v[30:31], v[18:19]
	v_add_f32_e32 v14, 0x3102e09b, v14
	v_mul_f64 v[18:19], v[22:23], v[18:19]
	v_fma_f32 v15, v7, v14, -v15
	v_add_f64 v[20:21], v[26:27], v[18:19]
	v_add_f32_e32 v15, 0x348815e7, v15
	v_add_f64 v[22:23], v[20:21], -v[26:27]
	s_mov_b32 s6, 0xbf559e2b
	v_fma_f32 v14, v7, v15, -v14
	v_add_f64 v[18:19], v[18:19], -v[22:23]
	v_mul_f64 v[22:23], v[20:21], v[20:21]
	v_mov_b32_e32 v24, 0x6b47b09a
	v_mov_b32_e32 v25, 0x3fc38538
	s_mov_b32 s7, 0x3fc3ab76
	v_add_f32_e32 v14, 0x37bfc808, v14
	v_fmac_f64_e32 v[24:25], s[6:7], v[22:23]
	v_mov_b32_e32 v26, 0xd7f4df2e
	v_mov_b32_e32 v27, 0x3fc7474d
	v_fma_f32 v15, v7, v14, -v15
	v_fmac_f64_e32 v[26:27], v[22:23], v[24:25]
	v_mov_b32_e32 v24, 0x16291751
	v_mov_b32_e32 v25, 0x3fcc71c0
	v_add_f32_e32 v15, 0x3aa5c174, v15
	v_fmac_f64_e32 v[24:25], v[22:23], v[26:27]
	v_mov_b32_e32 v26, 0x9b27acf1
	v_mov_b32_e32 v27, 0x3fd24924
	v_fma_f32 v14, v7, v15, -v14
	v_fmac_f64_e32 v[26:27], v[22:23], v[24:25]
	v_mov_b32_e32 v24, 0x998ef7b6
	v_mov_b32_e32 v25, 0x3fd99999
	v_add_f32_e32 v14, 0x3d135fb3, v14
	v_fmac_f64_e32 v[24:25], v[22:23], v[26:27]
	v_mov_b32_e32 v26, 0x55555780
	v_mov_b32_e32 v27, 0x3fe55555
	v_fma_f32 v15, v7, v14, -v15
	v_fmac_f64_e32 v[26:27], v[22:23], v[24:25]
	v_ldexp_f64 v[24:25], v[20:21], 1
	v_mul_f64 v[20:21], v[20:21], v[22:23]
	v_add_f32_e32 v15, 0x3eb046c4, v15
	v_mul_f64 v[20:21], v[20:21], v[26:27]
	v_fma_f32 v7, v7, v15, -v14
	v_add_f64 v[22:23], v[24:25], v[20:21]
	v_add_f32_e32 v7, 0xbf090b37, v7
	v_add_f64 v[24:25], v[22:23], -v[24:25]
	v_sub_f32_e32 v7, v7, v14
	v_ldexp_f64 v[18:19], v[18:19], 1
	v_add_f64 v[20:21], v[20:21], -v[24:25]
	v_mul_f32_e32 v7, 0.5, v7
	v_add_f64 v[18:19], v[18:19], v[20:21]
	v_cvt_f64_f32_e32 v[14:15], v7
	v_frexp_exp_i32_f64_e32 v7, v[16:17]
	v_add_f64 v[20:21], v[22:23], v[18:19]
	v_subbrev_co_u32_e32 v7, vcc, 0, v7, vcc
	v_add_f64 v[22:23], v[20:21], -v[22:23]
	s_mov_b32 s6, 0xfefa39ef
	v_add_f64 v[18:19], v[18:19], -v[22:23]
	v_cvt_f64_i32_e32 v[22:23], v7
	s_mov_b32 s7, 0x3fe62e42
	v_mul_f64 v[24:25], v[22:23], s[6:7]
	v_fma_f64 v[26:27], v[22:23], s[6:7], -v[24:25]
	s_mov_b32 s6, 0x3b39803f
	s_mov_b32 s7, 0x3c7abc9e
	v_fmac_f64_e32 v[26:27], s[6:7], v[22:23]
	v_add_f64 v[22:23], v[24:25], v[26:27]
	v_add_f64 v[24:25], v[22:23], -v[24:25]
	v_add_f64 v[24:25], v[26:27], -v[24:25]
	v_add_f64 v[26:27], v[22:23], v[20:21]
	v_add_f64 v[28:29], v[26:27], -v[22:23]
	v_add_f64 v[30:31], v[26:27], -v[28:29]
	;; [unrolled: 1-line block ×4, first 2 shown]
	v_add_f64 v[20:21], v[20:21], v[22:23]
	v_add_f64 v[22:23], v[24:25], v[18:19]
	v_add_f64 v[28:29], v[22:23], -v[24:25]
	v_add_f64 v[30:31], v[22:23], -v[28:29]
	v_add_f64 v[20:21], v[22:23], v[20:21]
	v_add_f64 v[24:25], v[24:25], -v[30:31]
	v_add_f64 v[18:19], v[18:19], -v[28:29]
	v_add_f64 v[22:23], v[26:27], v[20:21]
	v_add_f64 v[18:19], v[18:19], v[24:25]
	v_add_f64 v[24:25], v[22:23], -v[26:27]
	v_add_f64 v[20:21], v[20:21], -v[24:25]
	s_mov_b32 s6, 0
	v_add_f64 v[18:19], v[18:19], v[20:21]
	s_mov_b32 s7, 0x7ff00000
	v_add_f64 v[18:19], v[22:23], v[18:19]
	v_cmp_eq_f64_e32 vcc, s[6:7], v[16:17]
	v_cndmask_b32_e32 v7, v18, v16, vcc
	v_cndmask_b32_e32 v13, v19, v17, vcc
	v_mov_b32_e32 v18, 0xfff00000
	v_cmp_neq_f64_e32 vcc, 0, v[16:17]
	v_cndmask_b32_e32 v17, v18, v13, vcc
	v_cndmask_b32_e32 v16, 0, v7, vcc
	v_cvt_f64_f32_e32 v[18:19], v3
	v_fma_f64 v[14:15], -v[16:17], v[18:19], v[14:15]
	v_cvt_f32_f64_e32 v7, v[14:15]
                                        ; implicit-def: $vgpr13
.LBB12_31:
	s_andn2_saveexec_b64 s[14:15], s[14:15]
	s_cbranch_execz .LBB12_33
; %bb.32:
	s_mov_b32 s16, 0x41000000
	v_div_scale_f32 v3, s[6:7], v13, v13, s16
	v_rcp_f32_e32 v7, v3
	v_div_scale_f32 v14, vcc, s16, v13, s16
	s_mov_b32 s6, 0xbfb8aa3b
	v_fma_f32 v15, -v3, v7, 1.0
	v_fmac_f32_e32 v7, v15, v7
	v_mul_f32_e32 v15, v14, v7
	v_fma_f32 v16, -v3, v15, v14
	v_fmac_f32_e32 v15, v16, v7
	v_fma_f32 v3, -v3, v15, v14
	v_div_fmas_f32 v3, v3, v7, v15
	v_div_fixup_f32 v3, v3, v13, s16
	v_add_f32_e32 v3, -2.0, v3
	v_mov_b32_e32 v7, 0xa397f665
	v_fmac_f32_e32 v7, 0x22c38d2e, v3
	v_mov_b32_e32 v14, 0xa2c38d2e
	v_fmac_f32_e32 v14, v3, v7
	v_add_f32_e32 v14, 0x24704972, v14
	v_fma_f32 v7, v3, v14, -v7
	v_add_f32_e32 v7, 0xa5417ca4, v7
	v_fma_f32 v14, v3, v7, -v14
	;; [unrolled: 2-line block ×17, first 2 shown]
	v_add_f32_e32 v7, 0xb5f5daa4, v7
	v_mul_f32_e32 v15, 0xbfb8aa3b, v13
	v_fma_f32 v14, v3, v7, -v14
	v_rndne_f32_e32 v16, v15
	v_add_f32_e32 v14, 0x376a09fe, v14
	v_sub_f32_e32 v17, v15, v16
	v_fma_f32 v15, v13, s6, -v15
	v_fma_f32 v7, v3, v14, -v7
	v_fmac_f32_e32 v15, 0xb2a5705f, v13
	v_add_f32_e32 v7, 0xb906bcbf, v7
	v_add_f32_e32 v15, v17, v15
	v_fma_f32 v14, v3, v7, -v14
	v_exp_f32_e32 v15, v15
	v_cvt_i32_f32_e32 v16, v16
	v_add_f32_e32 v14, 0x3acdc490, v14
	v_fma_f32 v7, v3, v14, -v7
	v_add_f32_e32 v7, 0xbd00cfb9, v7
	s_mov_b32 s6, 0x42ce8ed0
	v_fma_f32 v3, v3, v7, -v14
	v_ldexp_f32 v7, v15, v16
	v_cmp_nlt_f32_e32 vcc, s6, v13
	s_mov_b32 s6, 0xc2b17218
	v_cndmask_b32_e32 v7, 0, v7, vcc
	v_mov_b32_e32 v15, 0x7f800000
	v_cmp_ngt_f32_e32 vcc, s6, v13
	s_mov_b32 s6, 0xf800000
	v_cndmask_b32_e32 v7, v15, v7, vcc
	v_mul_f32_e32 v15, 0x4f800000, v13
	v_cmp_gt_f32_e32 vcc, s6, v13
	v_cndmask_b32_e32 v13, v13, v15, vcc
	v_sqrt_f32_e32 v15, v13
	v_add_f32_e32 v3, 0x401c2ded, v3
	v_sub_f32_e32 v3, v3, v14
	v_mul_f32_e32 v3, 0.5, v3
	v_mul_f32_e32 v3, v7, v3
	v_add_u32_e32 v7, -1, v15
	v_fma_f32 v14, -v7, v15, v13
	v_cmp_ge_f32_e64 s[6:7], 0, v14
	v_add_u32_e32 v14, 1, v15
	v_cndmask_b32_e64 v7, v15, v7, s[6:7]
	v_fma_f32 v15, -v14, v15, v13
	v_cmp_lt_f32_e64 s[6:7], 0, v15
	v_cndmask_b32_e64 v7, v7, v14, s[6:7]
	v_mul_f32_e32 v14, 0x37800000, v7
	v_cndmask_b32_e32 v7, v7, v14, vcc
	v_mov_b32_e32 v14, 0x260
	v_cmp_class_f32_e32 vcc, v13, v14
	v_cndmask_b32_e32 v7, v7, v13, vcc
	v_div_scale_f32 v13, s[6:7], v7, v7, v3
	v_rcp_f32_e32 v14, v13
	v_fma_f32 v15, -v13, v14, 1.0
	v_fmac_f32_e32 v14, v15, v14
	v_div_scale_f32 v15, vcc, v3, v7, v3
	v_mul_f32_e32 v16, v15, v14
	v_fma_f32 v17, -v13, v16, v15
	v_fmac_f32_e32 v16, v17, v14
	v_fma_f32 v13, -v13, v16, v15
	v_div_fmas_f32 v13, v13, v14, v16
	v_div_fixup_f32 v7, v13, v7, v3
.LBB12_33:
	s_or_b64 exec, exec, s[14:15]
.LBB12_34:
	s_or_b64 exec, exec, s[12:13]
.LBB12_35:
	s_or_b64 exec, exec, s[10:11]
.LBB12_36:
	s_or_b64 exec, exec, s[8:9]
	v_add_u32_e32 v3, 0x200, v5
	v_cmp_lt_i32_e32 vcc, v3, v4
	s_and_saveexec_b64 s[8:9], vcc
	s_cbranch_execz .LBB12_50
; %bb.37:
	s_waitcnt vmcnt(0) lgkmcnt(0)
	v_cmp_neq_f32_e32 vcc, 0, v12
	v_mov_b32_e32 v8, 0x7f800000
	s_and_saveexec_b64 s[10:11], vcc
	s_cbranch_execz .LBB12_49
; %bb.38:
	v_cmp_ngt_f32_e32 vcc, 0, v12
	v_mov_b32_e32 v8, 0x7fc00000
	s_and_saveexec_b64 s[12:13], vcc
	s_cbranch_execz .LBB12_48
; %bb.39:
	v_cmp_ge_f32_e32 vcc, 2.0, v12
	s_and_saveexec_b64 s[6:7], vcc
	s_xor_b64 s[14:15], exec, s[6:7]
	s_cbranch_execz .LBB12_45
; %bb.40:
	s_mov_b32 s6, 0x41000000
	v_cmp_ge_f32_e32 vcc, s6, v12
                                        ; implicit-def: $vgpr3
	s_and_saveexec_b64 s[6:7], vcc
	s_xor_b64 s[6:7], exec, s[6:7]
	s_cbranch_execz .LBB12_42
; %bb.41:
	v_fma_f32 v3, v12, 0.5, -2.0
	v_mov_b32_e32 v8, 0x24199b15
	v_fmac_f32_e32 v8, 0xa2a2e5b9, v3
	v_mov_b32_e32 v13, 0x22a2e5b9
	v_fmac_f32_e32 v13, v3, v8
	v_add_f32_e32 v13, 0xa58c275c, v13
	v_fma_f32 v8, v3, v13, -v8
	v_add_f32_e32 v8, 0x26f736c5, v8
	v_fma_f32 v13, v3, v8, -v13
	;; [unrolled: 2-line block ×23, first 2 shown]
	v_mul_f32_e32 v14, 0x3fb8aa3b, v12
	v_add_f32_e32 v8, 0x3d49f456, v8
	s_mov_b32 s16, 0x3fb8aa3b
	v_rndne_f32_e32 v15, v14
	v_fma_f32 v13, v3, v8, -v13
	v_sub_f32_e32 v16, v14, v15
	v_fma_f32 v14, v12, s16, -v14
	v_add_f32_e32 v13, 0xbdc25b82, v13
	v_fmac_f32_e32 v14, 0x32a5705f, v12
	v_fma_f32 v8, v3, v13, -v8
	v_add_f32_e32 v14, v16, v14
	v_add_f32_e32 v8, 0x3e2fbd64, v8
	v_exp_f32_e32 v14, v14
	v_cvt_i32_f32_e32 v15, v15
	v_fma_f32 v13, v3, v8, -v13
	v_add_f32_e32 v13, 0xbe9bff5e, v13
	v_fma_f32 v3, v3, v13, -v8
	s_mov_b32 s16, 0xc2ce8ed0
	v_add_f32_e32 v3, 0x3f2d4275, v3
	v_ldexp_f32 v13, v14, v15
	v_cmp_ngt_f32_e32 vcc, s16, v12
	s_mov_b32 s16, 0x42b17218
	v_cndmask_b32_e32 v13, 0, v13, vcc
	v_mov_b32_e32 v14, 0x7f800000
	v_cmp_nlt_f32_e32 vcc, s16, v12
	v_sub_f32_e32 v3, v3, v8
	v_cndmask_b32_e32 v13, v14, v13, vcc
	v_mul_f32_e32 v3, 0.5, v3
	v_mul_f32_e32 v3, v13, v3
.LBB12_42:
	s_andn2_saveexec_b64 s[16:17], s[6:7]
	s_cbranch_execz .LBB12_44
; %bb.43:
	s_mov_b32 s19, 0x42000000
	v_div_scale_f32 v3, s[6:7], v12, v12, s19
	v_rcp_f32_e32 v8, v3
	v_div_scale_f32 v13, vcc, s19, v12, s19
	s_mov_b32 s6, 0x3fb8aa3b
	v_fma_f32 v14, -v3, v8, 1.0
	v_fmac_f32_e32 v8, v14, v8
	v_mul_f32_e32 v14, v13, v8
	v_fma_f32 v15, -v3, v14, v13
	v_fmac_f32_e32 v14, v15, v8
	v_fma_f32 v3, -v3, v14, v13
	v_div_fmas_f32 v3, v3, v8, v14
	v_div_fixup_f32 v3, v3, v12, s19
	v_add_f32_e32 v3, -2.0, v3
	v_mov_b32_e32 v8, 0xa2b236d3
	v_fmac_f32_e32 v8, 0xa3056dbb, v3
	v_mov_b32_e32 v13, 0x23056dbb
	v_fmac_f32_e32 v13, v3, v8
	v_add_f32_e32 v13, 0x244df0c1, v13
	v_fma_f32 v8, v3, v13, -v8
	v_add_f32_e32 v8, 0x241f9ee8, v8
	v_fma_f32 v13, v3, v8, -v13
	;; [unrolled: 2-line block ×17, first 2 shown]
	v_add_f32_e32 v8, 0x32c2b494, v8
	v_mul_f32_e32 v14, 0x3fb8aa3b, v12
	v_fma_f32 v13, v3, v8, -v13
	v_rndne_f32_e32 v15, v14
	v_add_f32_e32 v13, 0x345c003f, v13
	v_sub_f32_e32 v16, v14, v15
	v_fma_f32 v14, v12, s6, -v14
	v_fma_f32 v8, v3, v13, -v8
	v_fmac_f32_e32 v14, 0x32a5705f, v12
	v_add_f32_e32 v8, 0x3642095e, v8
	v_add_f32_e32 v14, v16, v14
	v_fma_f32 v13, v3, v8, -v13
	v_exp_f32_e32 v14, v14
	v_cvt_i32_f32_e32 v15, v15
	v_add_f32_e32 v13, 0x38907d1c, v13
	v_fma_f32 v8, v3, v13, -v8
	v_add_f32_e32 v8, 0x3b5ccc65, v8
	s_mov_b32 s6, 0xc2ce8ed0
	v_fma_f32 v3, v3, v8, -v13
	v_ldexp_f32 v8, v14, v15
	v_cmp_ngt_f32_e32 vcc, s6, v12
	s_mov_b32 s6, 0x42b17218
	v_cndmask_b32_e32 v8, 0, v8, vcc
	v_mov_b32_e32 v14, 0x7f800000
	v_cmp_nlt_f32_e32 vcc, s6, v12
	s_mov_b32 s6, 0xf800000
	v_cndmask_b32_e32 v8, v14, v8, vcc
	v_mul_f32_e32 v14, 0x4f800000, v12
	v_cmp_gt_f32_e32 vcc, s6, v12
	v_cndmask_b32_e32 v14, v12, v14, vcc
	v_sqrt_f32_e32 v15, v14
	v_add_f32_e32 v3, 0x3f4df315, v3
	v_sub_f32_e32 v3, v3, v13
	v_mul_f32_e32 v3, 0.5, v3
	v_mul_f32_e32 v3, v8, v3
	v_add_u32_e32 v8, -1, v15
	v_fma_f32 v13, -v8, v15, v14
	v_cmp_ge_f32_e64 s[6:7], 0, v13
	v_add_u32_e32 v13, 1, v15
	v_cndmask_b32_e64 v8, v15, v8, s[6:7]
	v_fma_f32 v15, -v13, v15, v14
	v_cmp_lt_f32_e64 s[6:7], 0, v15
	v_cndmask_b32_e64 v8, v8, v13, s[6:7]
	v_mul_f32_e32 v13, 0x37800000, v8
	v_cndmask_b32_e32 v8, v8, v13, vcc
	v_mov_b32_e32 v13, 0x260
	v_cmp_class_f32_e32 vcc, v14, v13
	v_cndmask_b32_e32 v8, v8, v14, vcc
	v_div_scale_f32 v13, s[6:7], v8, v8, v3
	v_rcp_f32_e32 v14, v13
	v_fma_f32 v15, -v13, v14, 1.0
	v_fmac_f32_e32 v14, v15, v14
	v_div_scale_f32 v15, vcc, v3, v8, v3
	v_mul_f32_e32 v16, v15, v14
	v_fma_f32 v17, -v13, v16, v15
	v_fmac_f32_e32 v16, v17, v14
	v_fma_f32 v13, -v13, v16, v15
	v_div_fmas_f32 v13, v13, v14, v16
	v_div_fixup_f32 v3, v13, v8, v3
.LBB12_44:
	s_or_b64 exec, exec, s[16:17]
	v_fma_f32 v8, v12, v12, -2.0
	v_mov_b32_e32 v13, 0x293fd856
	v_fmac_f32_e32 v13, 0x251e770f, v8
	v_mov_b32_e32 v14, 0xa51e770f
	v_fmac_f32_e32 v14, v8, v13
	v_add_f32_e32 v14, 0x2d3612e2, v14
	v_fma_f32 v13, v8, v14, -v13
	v_add_f32_e32 v13, 0x3102e09b, v13
	v_fma_f32 v14, v8, v13, -v14
	;; [unrolled: 2-line block ×7, first 2 shown]
	v_add_f32_e32 v8, 0xbf090b37, v8
	v_sub_f32_e32 v8, v8, v13
	v_cvt_f64_f32_e32 v[12:13], v12
	v_mul_f64 v[12:13], v[12:13], 0.5
	s_mov_b32 s6, 0x55555555
	v_frexp_mant_f64_e32 v[16:17], v[12:13]
	s_mov_b32 s7, 0x3fe55555
	v_mov_b32_e32 v18, 0x3ff00000
	v_cmp_gt_f64_e32 vcc, s[6:7], v[16:17]
	v_cndmask_b32_e64 v19, v18, 2.0, vcc
	v_mov_b32_e32 v18, 0
	v_mul_f64 v[16:17], v[16:17], v[18:19]
	v_add_f64 v[18:19], v[16:17], 1.0
	v_rcp_f64_e32 v[20:21], v[18:19]
	v_add_f64 v[24:25], v[18:19], -1.0
	v_add_f64 v[22:23], v[16:17], -1.0
	v_add_f64 v[16:17], v[16:17], -v[24:25]
	v_fma_f64 v[24:25], -v[18:19], v[20:21], 1.0
	v_fmac_f64_e32 v[20:21], v[24:25], v[20:21]
	v_fma_f64 v[24:25], -v[18:19], v[20:21], 1.0
	v_fmac_f64_e32 v[20:21], v[24:25], v[20:21]
	v_mul_f64 v[24:25], v[22:23], v[20:21]
	v_mul_f64 v[26:27], v[18:19], v[24:25]
	v_fma_f64 v[18:19], v[24:25], v[18:19], -v[26:27]
	v_fmac_f64_e32 v[18:19], v[24:25], v[16:17]
	v_add_f64 v[16:17], v[26:27], v[18:19]
	v_add_f64 v[28:29], v[22:23], -v[16:17]
	v_add_f64 v[26:27], v[16:17], -v[26:27]
	;; [unrolled: 1-line block ×5, first 2 shown]
	v_add_f64 v[16:17], v[18:19], v[16:17]
	v_add_f64 v[16:17], v[28:29], v[16:17]
	v_mul_f64 v[16:17], v[20:21], v[16:17]
	v_add_f64 v[18:19], v[24:25], v[16:17]
	v_add_f64 v[20:21], v[18:19], -v[24:25]
	s_mov_b32 s6, 0xbf559e2b
	v_add_f64 v[16:17], v[16:17], -v[20:21]
	v_mul_f64 v[20:21], v[18:19], v[18:19]
	v_mov_b32_e32 v22, 0x6b47b09a
	v_mov_b32_e32 v23, 0x3fc38538
	s_mov_b32 s7, 0x3fc3ab76
	v_fmac_f64_e32 v[22:23], s[6:7], v[20:21]
	v_mov_b32_e32 v24, 0xd7f4df2e
	v_mov_b32_e32 v25, 0x3fc7474d
	v_fmac_f64_e32 v[24:25], v[20:21], v[22:23]
	v_mov_b32_e32 v22, 0x16291751
	v_mov_b32_e32 v23, 0x3fcc71c0
	;; [unrolled: 3-line block ×5, first 2 shown]
	v_fmac_f64_e32 v[24:25], v[20:21], v[22:23]
	v_ldexp_f64 v[22:23], v[18:19], 1
	v_mul_f64 v[18:19], v[18:19], v[20:21]
	v_mul_f64 v[18:19], v[18:19], v[24:25]
	v_add_f64 v[20:21], v[22:23], v[18:19]
	v_add_f64 v[22:23], v[20:21], -v[22:23]
	v_ldexp_f64 v[16:17], v[16:17], 1
	v_add_f64 v[18:19], v[18:19], -v[22:23]
	v_mul_f32_e32 v8, 0.5, v8
	v_add_f64 v[16:17], v[16:17], v[18:19]
	v_cvt_f64_f32_e32 v[14:15], v8
	v_frexp_exp_i32_f64_e32 v8, v[12:13]
	v_add_f64 v[18:19], v[20:21], v[16:17]
	v_subbrev_co_u32_e32 v8, vcc, 0, v8, vcc
	v_add_f64 v[20:21], v[18:19], -v[20:21]
	s_mov_b32 s6, 0xfefa39ef
	v_add_f64 v[16:17], v[16:17], -v[20:21]
	v_cvt_f64_i32_e32 v[20:21], v8
	s_mov_b32 s7, 0x3fe62e42
	v_mul_f64 v[22:23], v[20:21], s[6:7]
	v_fma_f64 v[24:25], v[20:21], s[6:7], -v[22:23]
	s_mov_b32 s6, 0x3b39803f
	s_mov_b32 s7, 0x3c7abc9e
	v_fmac_f64_e32 v[24:25], s[6:7], v[20:21]
	v_add_f64 v[20:21], v[22:23], v[24:25]
	v_add_f64 v[22:23], v[20:21], -v[22:23]
	v_add_f64 v[22:23], v[24:25], -v[22:23]
	v_add_f64 v[24:25], v[20:21], v[18:19]
	v_add_f64 v[26:27], v[24:25], -v[20:21]
	v_add_f64 v[28:29], v[24:25], -v[26:27]
	;; [unrolled: 1-line block ×4, first 2 shown]
	v_add_f64 v[18:19], v[18:19], v[20:21]
	v_add_f64 v[20:21], v[22:23], v[16:17]
	v_add_f64 v[26:27], v[20:21], -v[22:23]
	v_add_f64 v[28:29], v[20:21], -v[26:27]
	v_add_f64 v[18:19], v[20:21], v[18:19]
	v_add_f64 v[22:23], v[22:23], -v[28:29]
	v_add_f64 v[16:17], v[16:17], -v[26:27]
	v_add_f64 v[20:21], v[24:25], v[18:19]
	v_add_f64 v[16:17], v[16:17], v[22:23]
	v_add_f64 v[22:23], v[20:21], -v[24:25]
	v_add_f64 v[18:19], v[18:19], -v[22:23]
	s_mov_b32 s6, 0
	v_add_f64 v[16:17], v[16:17], v[18:19]
	s_mov_b32 s7, 0x7ff00000
	v_add_f64 v[16:17], v[20:21], v[16:17]
	v_cmp_eq_f64_e32 vcc, s[6:7], v[12:13]
	v_cndmask_b32_e32 v8, v16, v12, vcc
	v_cndmask_b32_e32 v16, v17, v13, vcc
	v_mov_b32_e32 v17, 0xfff00000
	v_cmp_neq_f64_e32 vcc, 0, v[12:13]
	v_cndmask_b32_e32 v13, v17, v16, vcc
	v_cndmask_b32_e32 v12, 0, v8, vcc
	v_cvt_f64_f32_e32 v[16:17], v3
	v_fma_f64 v[12:13], -v[12:13], v[16:17], v[14:15]
	v_cvt_f32_f64_e32 v8, v[12:13]
                                        ; implicit-def: $vgpr12
.LBB12_45:
	s_andn2_saveexec_b64 s[14:15], s[14:15]
	s_cbranch_execz .LBB12_47
; %bb.46:
	s_mov_b32 s16, 0x41000000
	v_div_scale_f32 v3, s[6:7], v12, v12, s16
	v_rcp_f32_e32 v8, v3
	v_div_scale_f32 v13, vcc, s16, v12, s16
	s_mov_b32 s6, 0xbfb8aa3b
	v_fma_f32 v14, -v3, v8, 1.0
	v_fmac_f32_e32 v8, v14, v8
	v_mul_f32_e32 v14, v13, v8
	v_fma_f32 v15, -v3, v14, v13
	v_fmac_f32_e32 v14, v15, v8
	v_fma_f32 v3, -v3, v14, v13
	v_div_fmas_f32 v3, v3, v8, v14
	v_div_fixup_f32 v3, v3, v12, s16
	v_add_f32_e32 v3, -2.0, v3
	v_mov_b32_e32 v8, 0xa397f665
	v_fmac_f32_e32 v8, 0x22c38d2e, v3
	v_mov_b32_e32 v13, 0xa2c38d2e
	v_fmac_f32_e32 v13, v3, v8
	v_add_f32_e32 v13, 0x24704972, v13
	v_fma_f32 v8, v3, v13, -v8
	v_add_f32_e32 v8, 0xa5417ca4, v8
	v_fma_f32 v13, v3, v8, -v13
	v_add_f32_e32 v13, 0x261edfcb, v13
	v_fma_f32 v8, v3, v13, -v8
	v_add_f32_e32 v8, 0xa7053487, v8
	v_fma_f32 v13, v3, v8, -v13
	v_add_f32_e32 v13, 0x27e46ce2, v13
	v_fma_f32 v8, v3, v13, -v8
	v_add_f32_e32 v8, 0xa8c8a2f6, v8
	v_fma_f32 v13, v3, v8, -v13
	v_add_f32_e32 v13, 0x29b4e276, v13
	v_fma_f32 v8, v3, v13, -v8
	v_add_f32_e32 v8, 0xaaa7c3b9, v8
	v_fma_f32 v13, v3, v8, -v13
	v_add_f32_e32 v13, 0x2ba07d19, v13
	v_fma_f32 v8, v3, v13, -v8
	v_add_f32_e32 v8, 0xac9ed7e2, v8
	v_fma_f32 v13, v3, v8, -v13
	v_add_f32_e32 v13, 0x2da34042, v13
	v_fma_f32 v8, v3, v13, -v8
	v_add_f32_e32 v8, 0xaeaefcaf, v8
	v_fma_f32 v13, v3, v8, -v13
	v_add_f32_e32 v13, 0x2fc4ab64, v13
	v_fma_f32 v8, v3, v13, -v8
	v_add_f32_e32 v8, 0xb0e94eb0, v8
	v_fma_f32 v13, v3, v8, -v13
	v_add_f32_e32 v13, 0x32134d00, v13
	v_fma_f32 v8, v3, v13, -v8
	v_add_f32_e32 v8, 0xb3482aa1, v8
	v_fma_f32 v13, v3, v8, -v13
	v_add_f32_e32 v13, 0x34948acc, v13
	v_fma_f32 v8, v3, v13, -v8
	v_add_f32_e32 v8, 0xb5f5daa4, v8
	v_mul_f32_e32 v14, 0xbfb8aa3b, v12
	v_fma_f32 v13, v3, v8, -v13
	v_rndne_f32_e32 v15, v14
	v_add_f32_e32 v13, 0x376a09fe, v13
	v_sub_f32_e32 v16, v14, v15
	v_fma_f32 v14, v12, s6, -v14
	v_fma_f32 v8, v3, v13, -v8
	v_fmac_f32_e32 v14, 0xb2a5705f, v12
	v_add_f32_e32 v8, 0xb906bcbf, v8
	v_add_f32_e32 v14, v16, v14
	v_fma_f32 v13, v3, v8, -v13
	v_exp_f32_e32 v14, v14
	v_cvt_i32_f32_e32 v15, v15
	v_add_f32_e32 v13, 0x3acdc490, v13
	v_fma_f32 v8, v3, v13, -v8
	v_add_f32_e32 v8, 0xbd00cfb9, v8
	s_mov_b32 s6, 0x42ce8ed0
	v_fma_f32 v3, v3, v8, -v13
	v_ldexp_f32 v8, v14, v15
	v_cmp_nlt_f32_e32 vcc, s6, v12
	s_mov_b32 s6, 0xc2b17218
	v_cndmask_b32_e32 v8, 0, v8, vcc
	v_mov_b32_e32 v14, 0x7f800000
	v_cmp_ngt_f32_e32 vcc, s6, v12
	s_mov_b32 s6, 0xf800000
	v_cndmask_b32_e32 v8, v14, v8, vcc
	v_mul_f32_e32 v14, 0x4f800000, v12
	v_cmp_gt_f32_e32 vcc, s6, v12
	v_cndmask_b32_e32 v12, v12, v14, vcc
	v_sqrt_f32_e32 v14, v12
	v_add_f32_e32 v3, 0x401c2ded, v3
	v_sub_f32_e32 v3, v3, v13
	v_mul_f32_e32 v3, 0.5, v3
	v_mul_f32_e32 v3, v8, v3
	v_add_u32_e32 v8, -1, v14
	v_fma_f32 v13, -v8, v14, v12
	v_cmp_ge_f32_e64 s[6:7], 0, v13
	v_add_u32_e32 v13, 1, v14
	v_cndmask_b32_e64 v8, v14, v8, s[6:7]
	v_fma_f32 v14, -v13, v14, v12
	v_cmp_lt_f32_e64 s[6:7], 0, v14
	v_cndmask_b32_e64 v8, v8, v13, s[6:7]
	v_mul_f32_e32 v13, 0x37800000, v8
	v_cndmask_b32_e32 v8, v8, v13, vcc
	v_mov_b32_e32 v13, 0x260
	v_cmp_class_f32_e32 vcc, v12, v13
	v_cndmask_b32_e32 v8, v8, v12, vcc
	v_div_scale_f32 v12, s[6:7], v8, v8, v3
	v_rcp_f32_e32 v13, v12
	v_fma_f32 v14, -v12, v13, 1.0
	v_fmac_f32_e32 v13, v14, v13
	v_div_scale_f32 v14, vcc, v3, v8, v3
	v_mul_f32_e32 v15, v14, v13
	v_fma_f32 v16, -v12, v15, v14
	v_fmac_f32_e32 v15, v16, v13
	v_fma_f32 v12, -v12, v15, v14
	v_div_fmas_f32 v12, v12, v13, v15
	v_div_fixup_f32 v8, v12, v8, v3
.LBB12_47:
	s_or_b64 exec, exec, s[14:15]
.LBB12_48:
	s_or_b64 exec, exec, s[12:13]
.LBB12_49:
	s_or_b64 exec, exec, s[10:11]
.LBB12_50:
	s_or_b64 exec, exec, s[8:9]
	v_add_u32_e32 v3, 0x300, v5
	v_cmp_lt_i32_e32 vcc, v3, v4
	s_and_saveexec_b64 s[8:9], vcc
	s_cbranch_execnz .LBB12_56
; %bb.51:
	s_or_b64 exec, exec, s[8:9]
	s_and_saveexec_b64 s[6:7], s[4:5]
	s_xor_b64 s[4:5], exec, s[6:7]
	s_cbranch_execnz .LBB12_69
.LBB12_52:
	s_or_b64 exec, exec, s[4:5]
	v_cmp_lt_i32_e32 vcc, v5, v4
	s_and_saveexec_b64 s[4:5], vcc
	s_cbranch_execnz .LBB12_70
.LBB12_53:
	s_or_b64 exec, exec, s[4:5]
	v_cmp_lt_i32_e32 vcc, v5, v4
	s_and_saveexec_b64 s[4:5], vcc
	s_cbranch_execnz .LBB12_71
.LBB12_54:
	s_or_b64 exec, exec, s[4:5]
	v_cmp_lt_i32_e32 vcc, v5, v4
	s_and_saveexec_b64 s[4:5], vcc
	s_cbranch_execnz .LBB12_72
.LBB12_55:
	s_or_b64 exec, exec, s[4:5]
	s_waitcnt vmcnt(0) lgkmcnt(0)
	s_setpc_b64 s[30:31]
.LBB12_56:
	s_waitcnt vmcnt(0) lgkmcnt(0)
	v_cmp_neq_f32_e32 vcc, 0, v11
	v_mov_b32_e32 v9, 0x7f800000
	s_and_saveexec_b64 s[10:11], vcc
	s_cbranch_execz .LBB12_68
; %bb.57:
	v_cmp_ngt_f32_e32 vcc, 0, v11
	v_mov_b32_e32 v9, 0x7fc00000
	s_and_saveexec_b64 s[12:13], vcc
	s_cbranch_execz .LBB12_67
; %bb.58:
	v_cmp_ge_f32_e32 vcc, 2.0, v11
	s_and_saveexec_b64 s[6:7], vcc
	s_xor_b64 s[14:15], exec, s[6:7]
	s_cbranch_execz .LBB12_64
; %bb.59:
	s_mov_b32 s6, 0x41000000
	v_cmp_ge_f32_e32 vcc, s6, v11
                                        ; implicit-def: $vgpr3
	s_and_saveexec_b64 s[6:7], vcc
	s_xor_b64 s[6:7], exec, s[6:7]
	s_cbranch_execz .LBB12_61
; %bb.60:
	v_fma_f32 v3, v11, 0.5, -2.0
	v_mov_b32_e32 v9, 0x24199b15
	v_fmac_f32_e32 v9, 0xa2a2e5b9, v3
	v_mov_b32_e32 v12, 0x22a2e5b9
	v_fmac_f32_e32 v12, v3, v9
	v_add_f32_e32 v12, 0xa58c275c, v12
	v_fma_f32 v9, v3, v12, -v9
	v_add_f32_e32 v9, 0x26f736c5, v9
	v_fma_f32 v12, v3, v9, -v12
	;; [unrolled: 2-line block ×23, first 2 shown]
	v_mul_f32_e32 v13, 0x3fb8aa3b, v11
	v_add_f32_e32 v9, 0x3d49f456, v9
	s_mov_b32 s16, 0x3fb8aa3b
	v_rndne_f32_e32 v14, v13
	v_fma_f32 v12, v3, v9, -v12
	v_sub_f32_e32 v15, v13, v14
	v_fma_f32 v13, v11, s16, -v13
	v_add_f32_e32 v12, 0xbdc25b82, v12
	v_fmac_f32_e32 v13, 0x32a5705f, v11
	v_fma_f32 v9, v3, v12, -v9
	v_add_f32_e32 v13, v15, v13
	v_add_f32_e32 v9, 0x3e2fbd64, v9
	v_exp_f32_e32 v13, v13
	v_cvt_i32_f32_e32 v14, v14
	v_fma_f32 v12, v3, v9, -v12
	v_add_f32_e32 v12, 0xbe9bff5e, v12
	v_fma_f32 v3, v3, v12, -v9
	s_mov_b32 s16, 0xc2ce8ed0
	v_add_f32_e32 v3, 0x3f2d4275, v3
	v_ldexp_f32 v12, v13, v14
	v_cmp_ngt_f32_e32 vcc, s16, v11
	s_mov_b32 s16, 0x42b17218
	v_cndmask_b32_e32 v12, 0, v12, vcc
	v_mov_b32_e32 v13, 0x7f800000
	v_cmp_nlt_f32_e32 vcc, s16, v11
	v_sub_f32_e32 v3, v3, v9
	v_cndmask_b32_e32 v12, v13, v12, vcc
	v_mul_f32_e32 v3, 0.5, v3
	v_mul_f32_e32 v3, v12, v3
.LBB12_61:
	s_andn2_saveexec_b64 s[16:17], s[6:7]
	s_cbranch_execz .LBB12_63
; %bb.62:
	s_mov_b32 s19, 0x42000000
	v_div_scale_f32 v3, s[6:7], v11, v11, s19
	v_rcp_f32_e32 v9, v3
	v_div_scale_f32 v12, vcc, s19, v11, s19
	s_mov_b32 s6, 0x3fb8aa3b
	v_fma_f32 v13, -v3, v9, 1.0
	v_fmac_f32_e32 v9, v13, v9
	v_mul_f32_e32 v13, v12, v9
	v_fma_f32 v14, -v3, v13, v12
	v_fmac_f32_e32 v13, v14, v9
	v_fma_f32 v3, -v3, v13, v12
	v_div_fmas_f32 v3, v3, v9, v13
	v_div_fixup_f32 v3, v3, v11, s19
	v_add_f32_e32 v3, -2.0, v3
	v_mov_b32_e32 v9, 0xa2b236d3
	v_fmac_f32_e32 v9, 0xa3056dbb, v3
	v_mov_b32_e32 v12, 0x23056dbb
	v_fmac_f32_e32 v12, v3, v9
	v_add_f32_e32 v12, 0x244df0c1, v12
	v_fma_f32 v9, v3, v12, -v9
	v_add_f32_e32 v9, 0x241f9ee8, v9
	v_fma_f32 v12, v3, v9, -v12
	;; [unrolled: 2-line block ×17, first 2 shown]
	v_add_f32_e32 v9, 0x32c2b494, v9
	v_mul_f32_e32 v13, 0x3fb8aa3b, v11
	v_fma_f32 v12, v3, v9, -v12
	v_rndne_f32_e32 v14, v13
	v_add_f32_e32 v12, 0x345c003f, v12
	v_sub_f32_e32 v15, v13, v14
	v_fma_f32 v13, v11, s6, -v13
	v_fma_f32 v9, v3, v12, -v9
	v_fmac_f32_e32 v13, 0x32a5705f, v11
	v_add_f32_e32 v9, 0x3642095e, v9
	v_add_f32_e32 v13, v15, v13
	v_fma_f32 v12, v3, v9, -v12
	v_exp_f32_e32 v13, v13
	v_cvt_i32_f32_e32 v14, v14
	v_add_f32_e32 v12, 0x38907d1c, v12
	v_fma_f32 v9, v3, v12, -v9
	v_add_f32_e32 v9, 0x3b5ccc65, v9
	s_mov_b32 s6, 0xc2ce8ed0
	v_fma_f32 v3, v3, v9, -v12
	v_ldexp_f32 v9, v13, v14
	v_cmp_ngt_f32_e32 vcc, s6, v11
	s_mov_b32 s6, 0x42b17218
	v_cndmask_b32_e32 v9, 0, v9, vcc
	v_mov_b32_e32 v13, 0x7f800000
	v_cmp_nlt_f32_e32 vcc, s6, v11
	s_mov_b32 s6, 0xf800000
	v_cndmask_b32_e32 v9, v13, v9, vcc
	v_mul_f32_e32 v13, 0x4f800000, v11
	v_cmp_gt_f32_e32 vcc, s6, v11
	v_cndmask_b32_e32 v13, v11, v13, vcc
	v_sqrt_f32_e32 v14, v13
	v_add_f32_e32 v3, 0x3f4df315, v3
	v_sub_f32_e32 v3, v3, v12
	v_mul_f32_e32 v3, 0.5, v3
	v_mul_f32_e32 v3, v9, v3
	v_add_u32_e32 v9, -1, v14
	v_fma_f32 v12, -v9, v14, v13
	v_cmp_ge_f32_e64 s[6:7], 0, v12
	v_add_u32_e32 v12, 1, v14
	v_cndmask_b32_e64 v9, v14, v9, s[6:7]
	v_fma_f32 v14, -v12, v14, v13
	v_cmp_lt_f32_e64 s[6:7], 0, v14
	v_cndmask_b32_e64 v9, v9, v12, s[6:7]
	v_mul_f32_e32 v12, 0x37800000, v9
	v_cndmask_b32_e32 v9, v9, v12, vcc
	v_mov_b32_e32 v12, 0x260
	v_cmp_class_f32_e32 vcc, v13, v12
	v_cndmask_b32_e32 v9, v9, v13, vcc
	v_div_scale_f32 v12, s[6:7], v9, v9, v3
	v_rcp_f32_e32 v13, v12
	v_fma_f32 v14, -v12, v13, 1.0
	v_fmac_f32_e32 v13, v14, v13
	v_div_scale_f32 v14, vcc, v3, v9, v3
	v_mul_f32_e32 v15, v14, v13
	v_fma_f32 v16, -v12, v15, v14
	v_fmac_f32_e32 v15, v16, v13
	v_fma_f32 v12, -v12, v15, v14
	v_div_fmas_f32 v12, v12, v13, v15
	v_div_fixup_f32 v3, v12, v9, v3
.LBB12_63:
	s_or_b64 exec, exec, s[16:17]
	v_cvt_f64_f32_e32 v[14:15], v11
	v_mul_f64 v[14:15], v[14:15], 0.5
	s_mov_b32 s6, 0x55555555
	v_frexp_mant_f64_e32 v[16:17], v[14:15]
	s_mov_b32 s7, 0x3fe55555
	v_fma_f32 v9, v11, v11, -2.0
	v_mov_b32_e32 v11, 0x3ff00000
	v_cmp_gt_f64_e32 vcc, s[6:7], v[16:17]
	v_cndmask_b32_e64 v19, v11, 2.0, vcc
	v_mov_b32_e32 v18, 0
	v_mul_f64 v[16:17], v[16:17], v[18:19]
	v_add_f64 v[18:19], v[16:17], 1.0
	v_rcp_f64_e32 v[20:21], v[18:19]
	v_add_f64 v[24:25], v[18:19], -1.0
	v_add_f64 v[22:23], v[16:17], -1.0
	v_add_f64 v[16:17], v[16:17], -v[24:25]
	v_fma_f64 v[24:25], -v[18:19], v[20:21], 1.0
	v_fmac_f64_e32 v[20:21], v[24:25], v[20:21]
	v_fma_f64 v[24:25], -v[18:19], v[20:21], 1.0
	v_fmac_f64_e32 v[20:21], v[24:25], v[20:21]
	v_mul_f64 v[24:25], v[22:23], v[20:21]
	v_mul_f64 v[26:27], v[18:19], v[24:25]
	v_fma_f64 v[18:19], v[24:25], v[18:19], -v[26:27]
	v_fmac_f64_e32 v[18:19], v[24:25], v[16:17]
	v_add_f64 v[16:17], v[26:27], v[18:19]
	v_mov_b32_e32 v12, 0x293fd856
	v_add_f64 v[28:29], v[22:23], -v[16:17]
	v_fmac_f32_e32 v12, 0x251e770f, v9
	v_mov_b32_e32 v13, 0xa51e770f
	v_add_f64 v[26:27], v[16:17], -v[26:27]
	v_add_f64 v[22:23], v[22:23], -v[28:29]
	v_fmac_f32_e32 v13, v9, v12
	v_add_f64 v[16:17], v[22:23], -v[16:17]
	v_add_f64 v[18:19], v[26:27], -v[18:19]
	v_add_f32_e32 v13, 0x2d3612e2, v13
	v_add_f64 v[16:17], v[18:19], v[16:17]
	v_fma_f32 v12, v9, v13, -v12
	v_add_f64 v[16:17], v[28:29], v[16:17]
	v_add_f32_e32 v12, 0x3102e09b, v12
	v_mul_f64 v[16:17], v[20:21], v[16:17]
	v_fma_f32 v13, v9, v12, -v13
	v_add_f64 v[18:19], v[24:25], v[16:17]
	v_add_f32_e32 v13, 0x348815e7, v13
	v_add_f64 v[20:21], v[18:19], -v[24:25]
	s_mov_b32 s6, 0xbf559e2b
	v_fma_f32 v12, v9, v13, -v12
	v_add_f64 v[16:17], v[16:17], -v[20:21]
	v_mul_f64 v[20:21], v[18:19], v[18:19]
	v_mov_b32_e32 v22, 0x6b47b09a
	v_mov_b32_e32 v23, 0x3fc38538
	s_mov_b32 s7, 0x3fc3ab76
	v_add_f32_e32 v12, 0x37bfc808, v12
	v_fmac_f64_e32 v[22:23], s[6:7], v[20:21]
	v_mov_b32_e32 v24, 0xd7f4df2e
	v_mov_b32_e32 v25, 0x3fc7474d
	v_fma_f32 v13, v9, v12, -v13
	v_fmac_f64_e32 v[24:25], v[20:21], v[22:23]
	v_mov_b32_e32 v22, 0x16291751
	v_mov_b32_e32 v23, 0x3fcc71c0
	v_add_f32_e32 v13, 0x3aa5c174, v13
	v_fmac_f64_e32 v[22:23], v[20:21], v[24:25]
	v_mov_b32_e32 v24, 0x9b27acf1
	v_mov_b32_e32 v25, 0x3fd24924
	v_fma_f32 v12, v9, v13, -v12
	v_fmac_f64_e32 v[24:25], v[20:21], v[22:23]
	v_mov_b32_e32 v22, 0x998ef7b6
	v_mov_b32_e32 v23, 0x3fd99999
	v_add_f32_e32 v12, 0x3d135fb3, v12
	v_fmac_f64_e32 v[22:23], v[20:21], v[24:25]
	v_mov_b32_e32 v24, 0x55555780
	v_mov_b32_e32 v25, 0x3fe55555
	v_fma_f32 v13, v9, v12, -v13
	v_fmac_f64_e32 v[24:25], v[20:21], v[22:23]
	v_ldexp_f64 v[22:23], v[18:19], 1
	v_mul_f64 v[18:19], v[18:19], v[20:21]
	v_add_f32_e32 v13, 0x3eb046c4, v13
	v_mul_f64 v[18:19], v[18:19], v[24:25]
	v_fma_f32 v9, v9, v13, -v12
	v_add_f64 v[20:21], v[22:23], v[18:19]
	v_add_f32_e32 v9, 0xbf090b37, v9
	v_add_f64 v[22:23], v[20:21], -v[22:23]
	v_sub_f32_e32 v9, v9, v12
	v_ldexp_f64 v[16:17], v[16:17], 1
	v_add_f64 v[18:19], v[18:19], -v[22:23]
	v_mul_f32_e32 v9, 0.5, v9
	v_add_f64 v[16:17], v[16:17], v[18:19]
	v_cvt_f64_f32_e32 v[12:13], v9
	v_frexp_exp_i32_f64_e32 v9, v[14:15]
	v_add_f64 v[18:19], v[20:21], v[16:17]
	v_subbrev_co_u32_e32 v9, vcc, 0, v9, vcc
	v_add_f64 v[20:21], v[18:19], -v[20:21]
	s_mov_b32 s6, 0xfefa39ef
	v_add_f64 v[16:17], v[16:17], -v[20:21]
	v_cvt_f64_i32_e32 v[20:21], v9
	s_mov_b32 s7, 0x3fe62e42
	v_mul_f64 v[22:23], v[20:21], s[6:7]
	v_fma_f64 v[24:25], v[20:21], s[6:7], -v[22:23]
	s_mov_b32 s6, 0x3b39803f
	s_mov_b32 s7, 0x3c7abc9e
	v_fmac_f64_e32 v[24:25], s[6:7], v[20:21]
	v_add_f64 v[20:21], v[22:23], v[24:25]
	v_add_f64 v[22:23], v[20:21], -v[22:23]
	v_add_f64 v[22:23], v[24:25], -v[22:23]
	v_add_f64 v[24:25], v[20:21], v[18:19]
	v_add_f64 v[26:27], v[24:25], -v[20:21]
	v_add_f64 v[28:29], v[24:25], -v[26:27]
	;; [unrolled: 1-line block ×4, first 2 shown]
	v_add_f64 v[18:19], v[18:19], v[20:21]
	v_add_f64 v[20:21], v[22:23], v[16:17]
	v_add_f64 v[26:27], v[20:21], -v[22:23]
	v_add_f64 v[28:29], v[20:21], -v[26:27]
	v_add_f64 v[18:19], v[20:21], v[18:19]
	v_add_f64 v[22:23], v[22:23], -v[28:29]
	v_add_f64 v[16:17], v[16:17], -v[26:27]
	v_add_f64 v[20:21], v[24:25], v[18:19]
	v_add_f64 v[16:17], v[16:17], v[22:23]
	v_add_f64 v[22:23], v[20:21], -v[24:25]
	v_add_f64 v[18:19], v[18:19], -v[22:23]
	s_mov_b32 s6, 0
	v_add_f64 v[16:17], v[16:17], v[18:19]
	s_mov_b32 s7, 0x7ff00000
	v_add_f64 v[16:17], v[20:21], v[16:17]
	v_cmp_eq_f64_e32 vcc, s[6:7], v[14:15]
	v_cndmask_b32_e32 v9, v16, v14, vcc
	v_cndmask_b32_e32 v11, v17, v15, vcc
	v_mov_b32_e32 v16, 0xfff00000
	v_cmp_neq_f64_e32 vcc, 0, v[14:15]
	v_cndmask_b32_e32 v15, v16, v11, vcc
	v_cndmask_b32_e32 v14, 0, v9, vcc
	v_cvt_f64_f32_e32 v[16:17], v3
	v_fma_f64 v[12:13], -v[14:15], v[16:17], v[12:13]
	v_cvt_f32_f64_e32 v9, v[12:13]
                                        ; implicit-def: $vgpr11
.LBB12_64:
	s_andn2_saveexec_b64 s[14:15], s[14:15]
	s_cbranch_execz .LBB12_66
; %bb.65:
	s_mov_b32 s16, 0x41000000
	v_div_scale_f32 v3, s[6:7], v11, v11, s16
	v_rcp_f32_e32 v9, v3
	v_div_scale_f32 v12, vcc, s16, v11, s16
	s_mov_b32 s6, 0xbfb8aa3b
	v_fma_f32 v13, -v3, v9, 1.0
	v_fmac_f32_e32 v9, v13, v9
	v_mul_f32_e32 v13, v12, v9
	v_fma_f32 v14, -v3, v13, v12
	v_fmac_f32_e32 v13, v14, v9
	v_fma_f32 v3, -v3, v13, v12
	v_div_fmas_f32 v3, v3, v9, v13
	v_div_fixup_f32 v3, v3, v11, s16
	v_add_f32_e32 v3, -2.0, v3
	v_mov_b32_e32 v9, 0xa397f665
	v_fmac_f32_e32 v9, 0x22c38d2e, v3
	v_mov_b32_e32 v12, 0xa2c38d2e
	v_fmac_f32_e32 v12, v3, v9
	v_add_f32_e32 v12, 0x24704972, v12
	v_fma_f32 v9, v3, v12, -v9
	v_add_f32_e32 v9, 0xa5417ca4, v9
	v_fma_f32 v12, v3, v9, -v12
	;; [unrolled: 2-line block ×17, first 2 shown]
	v_add_f32_e32 v9, 0xb5f5daa4, v9
	v_mul_f32_e32 v13, 0xbfb8aa3b, v11
	v_fma_f32 v12, v3, v9, -v12
	v_rndne_f32_e32 v14, v13
	v_add_f32_e32 v12, 0x376a09fe, v12
	v_sub_f32_e32 v15, v13, v14
	v_fma_f32 v13, v11, s6, -v13
	v_fma_f32 v9, v3, v12, -v9
	v_fmac_f32_e32 v13, 0xb2a5705f, v11
	v_add_f32_e32 v9, 0xb906bcbf, v9
	v_add_f32_e32 v13, v15, v13
	v_fma_f32 v12, v3, v9, -v12
	v_exp_f32_e32 v13, v13
	v_cvt_i32_f32_e32 v14, v14
	v_add_f32_e32 v12, 0x3acdc490, v12
	v_fma_f32 v9, v3, v12, -v9
	v_add_f32_e32 v9, 0xbd00cfb9, v9
	s_mov_b32 s6, 0x42ce8ed0
	v_fma_f32 v3, v3, v9, -v12
	v_ldexp_f32 v9, v13, v14
	v_cmp_nlt_f32_e32 vcc, s6, v11
	s_mov_b32 s6, 0xc2b17218
	v_cndmask_b32_e32 v9, 0, v9, vcc
	v_mov_b32_e32 v13, 0x7f800000
	v_cmp_ngt_f32_e32 vcc, s6, v11
	s_mov_b32 s6, 0xf800000
	v_cndmask_b32_e32 v9, v13, v9, vcc
	v_mul_f32_e32 v13, 0x4f800000, v11
	v_cmp_gt_f32_e32 vcc, s6, v11
	v_cndmask_b32_e32 v11, v11, v13, vcc
	v_sqrt_f32_e32 v13, v11
	v_add_f32_e32 v3, 0x401c2ded, v3
	v_sub_f32_e32 v3, v3, v12
	v_mul_f32_e32 v3, 0.5, v3
	v_mul_f32_e32 v3, v9, v3
	v_add_u32_e32 v9, -1, v13
	v_fma_f32 v12, -v9, v13, v11
	v_cmp_ge_f32_e64 s[6:7], 0, v12
	v_add_u32_e32 v12, 1, v13
	v_cndmask_b32_e64 v9, v13, v9, s[6:7]
	v_fma_f32 v13, -v12, v13, v11
	v_cmp_lt_f32_e64 s[6:7], 0, v13
	v_cndmask_b32_e64 v9, v9, v12, s[6:7]
	v_mul_f32_e32 v12, 0x37800000, v9
	v_cndmask_b32_e32 v9, v9, v12, vcc
	v_mov_b32_e32 v12, 0x260
	v_cmp_class_f32_e32 vcc, v11, v12
	v_cndmask_b32_e32 v9, v9, v11, vcc
	v_div_scale_f32 v11, s[6:7], v9, v9, v3
	v_rcp_f32_e32 v12, v11
	v_fma_f32 v13, -v11, v12, 1.0
	v_fmac_f32_e32 v12, v13, v12
	v_div_scale_f32 v13, vcc, v3, v9, v3
	v_mul_f32_e32 v14, v13, v12
	v_fma_f32 v15, -v11, v14, v13
	v_fmac_f32_e32 v14, v15, v12
	v_fma_f32 v11, -v11, v14, v13
	v_div_fmas_f32 v11, v11, v12, v14
	v_div_fixup_f32 v9, v11, v9, v3
.LBB12_66:
	s_or_b64 exec, exec, s[14:15]
.LBB12_67:
	s_or_b64 exec, exec, s[12:13]
.LBB12_68:
	s_or_b64 exec, exec, s[10:11]
	s_or_b64 exec, exec, s[8:9]
	s_and_saveexec_b64 s[6:7], s[4:5]
	s_xor_b64 s[4:5], exec, s[6:7]
	s_cbranch_execz .LBB12_52
.LBB12_69:
	s_waitcnt vmcnt(0) lgkmcnt(0)
	v_mov_b32_e32 v11, 0
	v_lshlrev_b64 v[10:11], 2, v[10:11]
	v_add_co_u32_e32 v10, vcc, v0, v10
	v_addc_co_u32_e32 v11, vcc, v1, v11, vcc
	v_mov_b32_e32 v5, v2
	flat_store_dword v[10:11], v6
	s_or_b64 exec, exec, s[4:5]
	v_cmp_lt_i32_e32 vcc, v5, v4
	s_and_saveexec_b64 s[4:5], vcc
	s_cbranch_execz .LBB12_53
.LBB12_70:
	v_add_u32_e32 v2, s18, v5
	v_mov_b32_e32 v3, 0
	v_lshlrev_b64 v[2:3], 2, v[2:3]
	v_add_co_u32_e32 v2, vcc, v0, v2
	v_addc_co_u32_e32 v3, vcc, v1, v3, vcc
	v_add_u32_e32 v5, 0x100, v5
	flat_store_dword v[2:3], v7
	s_or_b64 exec, exec, s[4:5]
	v_cmp_lt_i32_e32 vcc, v5, v4
	s_and_saveexec_b64 s[4:5], vcc
	s_cbranch_execz .LBB12_54
.LBB12_71:
	v_add_u32_e32 v2, s18, v5
	v_mov_b32_e32 v3, 0
	v_lshlrev_b64 v[2:3], 2, v[2:3]
	v_add_co_u32_e32 v2, vcc, v0, v2
	v_addc_co_u32_e32 v3, vcc, v1, v3, vcc
	v_add_u32_e32 v5, 0x100, v5
	flat_store_dword v[2:3], v8
	s_or_b64 exec, exec, s[4:5]
	v_cmp_lt_i32_e32 vcc, v5, v4
	s_and_saveexec_b64 s[4:5], vcc
	s_cbranch_execz .LBB12_55
.LBB12_72:
	v_add_u32_e32 v2, s18, v5
	v_mov_b32_e32 v3, 0
	v_lshlrev_b64 v[2:3], 2, v[2:3]
	v_add_co_u32_e32 v0, vcc, v0, v2
	v_addc_co_u32_e32 v1, vcc, v1, v3, vcc
	flat_store_dword v[0:1], v9
	s_or_b64 exec, exec, s[4:5]
	s_waitcnt vmcnt(0) lgkmcnt(0)
	s_setpc_b64 s[30:31]
.Lfunc_end12:
	.size	_ZN2at6native25elementwise_kernel_helperILb0EZZZNS0_12_GLOBAL__N_130modified_bessel_k0_kernel_cudaERNS_18TensorIteratorBaseEENKUlvE_clEvENKUlvE0_clEvEUlfE_NS0_6memory8policies11unroll_baseILi256ESt5arrayIPcLm2EE23TrivialOffsetCalculatorILi1EjESF_NS8_15LoadWithoutCastENS8_16StoreWithoutCastELi4ELi1EEEEEvT0_T1_, .Lfunc_end12-_ZN2at6native25elementwise_kernel_helperILb0EZZZNS0_12_GLOBAL__N_130modified_bessel_k0_kernel_cudaERNS_18TensorIteratorBaseEENKUlvE_clEvENKUlvE0_clEvEUlfE_NS0_6memory8policies11unroll_baseILi256ESt5arrayIPcLm2EE23TrivialOffsetCalculatorILi1EjESF_NS8_15LoadWithoutCastENS8_16StoreWithoutCastELi4ELi1EEEEEvT0_T1_
                                        ; -- End function
	.section	.AMDGPU.csdata,"",@progbits
; Function info:
; codeLenInByte = 13388
; NumSgprs: 36
; NumVgprs: 32
; NumAgprs: 0
; TotalNumVgprs: 32
; ScratchSize: 0
; MemoryBound: 0
	.text
	.p2align	2                               ; -- Begin function _ZN2at6native25elementwise_kernel_helperILb0EZZZNS0_12_GLOBAL__N_130modified_bessel_k0_kernel_cudaERNS_18TensorIteratorBaseEENKUlvE_clEvENKUlvE0_clEvEUlfE_NS0_6memory8policies10vectorizedILi4ESt5arrayIPcLm2EELi4EEEEEvT0_T1_
	.type	_ZN2at6native25elementwise_kernel_helperILb0EZZZNS0_12_GLOBAL__N_130modified_bessel_k0_kernel_cudaERNS_18TensorIteratorBaseEENKUlvE_clEvENKUlvE0_clEvEUlfE_NS0_6memory8policies10vectorizedILi4ESt5arrayIPcLm2EELi4EEEEEvT0_T1_,@function
_ZN2at6native25elementwise_kernel_helperILb0EZZZNS0_12_GLOBAL__N_130modified_bessel_k0_kernel_cudaERNS_18TensorIteratorBaseEENKUlvE_clEvENKUlvE0_clEvEUlfE_NS0_6memory8policies10vectorizedILi4ESt5arrayIPcLm2EELi4EEEEEvT0_T1_: ; @_ZN2at6native25elementwise_kernel_helperILb0EZZZNS0_12_GLOBAL__N_130modified_bessel_k0_kernel_cudaERNS_18TensorIteratorBaseEENKUlvE_clEvENKUlvE0_clEvEUlfE_NS0_6memory8policies10vectorizedILi4ESt5arrayIPcLm2EELi4EEEEEvT0_T1_
; %bb.0:
	s_waitcnt vmcnt(0) expcnt(0) lgkmcnt(0)
	s_lshl_b32 s4, s12, 10
	s_ashr_i32 s5, s4, 31
	s_lshl_b64 s[6:7], s[4:5], 2
	v_mov_b32_e32 v4, s7
	v_add_co_u32_e32 v2, vcc, s6, v2
	v_addc_co_u32_e32 v3, vcc, v3, v4, vcc
	v_and_b32_e32 v4, 0x3ff, v31
	v_lshlrev_b32_e32 v10, 4, v4
	v_add_co_u32_e32 v2, vcc, v2, v10
	v_addc_co_u32_e32 v3, vcc, 0, v3, vcc
	flat_load_dwordx4 v[6:9], v[2:3]
	v_mov_b32_e32 v3, 0x7f800000
	v_mov_b32_e32 v2, 0x7f800000
	s_waitcnt vmcnt(0) lgkmcnt(0)
	v_cmp_neq_f32_e32 vcc, 0, v6
	s_and_saveexec_b64 s[8:9], vcc
	s_cbranch_execz .LBB13_12
; %bb.1:
	v_cmp_ngt_f32_e32 vcc, 0, v6
	v_mov_b32_e32 v2, 0x7fc00000
	s_and_saveexec_b64 s[10:11], vcc
	s_cbranch_execz .LBB13_11
; %bb.2:
	v_cmp_ge_f32_e32 vcc, 2.0, v6
	s_and_saveexec_b64 s[4:5], vcc
	s_xor_b64 s[12:13], exec, s[4:5]
	s_cbranch_execz .LBB13_8
; %bb.3:
	s_mov_b32 s4, 0x41000000
	v_cmp_ge_f32_e32 vcc, s4, v6
                                        ; implicit-def: $vgpr2
	s_and_saveexec_b64 s[4:5], vcc
	s_xor_b64 s[4:5], exec, s[4:5]
	s_cbranch_execz .LBB13_5
; %bb.4:
	v_fma_f32 v2, v6, 0.5, -2.0
	v_mov_b32_e32 v4, 0x24199b15
	v_fmac_f32_e32 v4, 0xa2a2e5b9, v2
	v_mov_b32_e32 v5, 0x22a2e5b9
	v_fmac_f32_e32 v5, v2, v4
	v_add_f32_e32 v5, 0xa58c275c, v5
	v_fma_f32 v4, v2, v5, -v4
	v_add_f32_e32 v4, 0x26f736c5, v4
	v_fma_f32 v5, v2, v4, -v5
	;; [unrolled: 2-line block ×23, first 2 shown]
	v_mul_f32_e32 v11, 0x3fb8aa3b, v6
	v_add_f32_e32 v4, 0x3d49f456, v4
	s_mov_b32 s14, 0x3fb8aa3b
	v_rndne_f32_e32 v12, v11
	v_fma_f32 v5, v2, v4, -v5
	v_sub_f32_e32 v13, v11, v12
	v_fma_f32 v11, v6, s14, -v11
	v_add_f32_e32 v5, 0xbdc25b82, v5
	v_fmac_f32_e32 v11, 0x32a5705f, v6
	v_fma_f32 v4, v2, v5, -v4
	v_add_f32_e32 v11, v13, v11
	v_add_f32_e32 v4, 0x3e2fbd64, v4
	v_exp_f32_e32 v11, v11
	v_cvt_i32_f32_e32 v12, v12
	v_fma_f32 v5, v2, v4, -v5
	v_add_f32_e32 v5, 0xbe9bff5e, v5
	v_fma_f32 v2, v2, v5, -v4
	s_mov_b32 s14, 0xc2ce8ed0
	v_add_f32_e32 v2, 0x3f2d4275, v2
	v_ldexp_f32 v5, v11, v12
	v_cmp_ngt_f32_e32 vcc, s14, v6
	s_mov_b32 s14, 0x42b17218
	v_cndmask_b32_e32 v5, 0, v5, vcc
	v_mov_b32_e32 v11, 0x7f800000
	v_cmp_nlt_f32_e32 vcc, s14, v6
	v_sub_f32_e32 v2, v2, v4
	v_cndmask_b32_e32 v5, v11, v5, vcc
	v_mul_f32_e32 v2, 0.5, v2
	v_mul_f32_e32 v2, v5, v2
.LBB13_5:
	s_andn2_saveexec_b64 s[14:15], s[4:5]
	s_cbranch_execz .LBB13_7
; %bb.6:
	s_mov_b32 s16, 0x42000000
	v_div_scale_f32 v2, s[4:5], v6, v6, s16
	v_rcp_f32_e32 v4, v2
	v_div_scale_f32 v5, vcc, s16, v6, s16
	s_mov_b32 s4, 0x3fb8aa3b
	v_fma_f32 v11, -v2, v4, 1.0
	v_fmac_f32_e32 v4, v11, v4
	v_mul_f32_e32 v11, v5, v4
	v_fma_f32 v12, -v2, v11, v5
	v_fmac_f32_e32 v11, v12, v4
	v_fma_f32 v2, -v2, v11, v5
	v_div_fmas_f32 v2, v2, v4, v11
	v_div_fixup_f32 v2, v2, v6, s16
	v_add_f32_e32 v2, -2.0, v2
	v_mov_b32_e32 v4, 0xa2b236d3
	v_fmac_f32_e32 v4, 0xa3056dbb, v2
	v_mov_b32_e32 v5, 0x23056dbb
	v_fmac_f32_e32 v5, v2, v4
	v_add_f32_e32 v5, 0x244df0c1, v5
	v_fma_f32 v4, v2, v5, -v4
	v_add_f32_e32 v4, 0x241f9ee8, v4
	v_fma_f32 v5, v2, v4, -v5
	;; [unrolled: 2-line block ×17, first 2 shown]
	v_add_f32_e32 v4, 0x32c2b494, v4
	v_mul_f32_e32 v11, 0x3fb8aa3b, v6
	v_fma_f32 v5, v2, v4, -v5
	v_rndne_f32_e32 v12, v11
	v_add_f32_e32 v5, 0x345c003f, v5
	v_sub_f32_e32 v13, v11, v12
	v_fma_f32 v11, v6, s4, -v11
	v_fma_f32 v4, v2, v5, -v4
	v_fmac_f32_e32 v11, 0x32a5705f, v6
	v_add_f32_e32 v4, 0x3642095e, v4
	v_add_f32_e32 v11, v13, v11
	v_fma_f32 v5, v2, v4, -v5
	v_exp_f32_e32 v11, v11
	v_cvt_i32_f32_e32 v12, v12
	v_add_f32_e32 v5, 0x38907d1c, v5
	v_fma_f32 v4, v2, v5, -v4
	v_add_f32_e32 v4, 0x3b5ccc65, v4
	s_mov_b32 s4, 0xc2ce8ed0
	v_fma_f32 v2, v2, v4, -v5
	v_ldexp_f32 v4, v11, v12
	v_cmp_ngt_f32_e32 vcc, s4, v6
	s_mov_b32 s4, 0x42b17218
	v_cndmask_b32_e32 v4, 0, v4, vcc
	v_mov_b32_e32 v11, 0x7f800000
	v_cmp_nlt_f32_e32 vcc, s4, v6
	s_mov_b32 s4, 0xf800000
	v_cndmask_b32_e32 v4, v11, v4, vcc
	v_mul_f32_e32 v11, 0x4f800000, v6
	v_cmp_gt_f32_e32 vcc, s4, v6
	v_cndmask_b32_e32 v11, v6, v11, vcc
	v_sqrt_f32_e32 v12, v11
	v_add_f32_e32 v2, 0x3f4df315, v2
	v_sub_f32_e32 v2, v2, v5
	v_mul_f32_e32 v2, 0.5, v2
	v_mul_f32_e32 v2, v4, v2
	v_add_u32_e32 v4, -1, v12
	v_fma_f32 v5, -v4, v12, v11
	v_cmp_ge_f32_e64 s[4:5], 0, v5
	v_add_u32_e32 v5, 1, v12
	v_cndmask_b32_e64 v4, v12, v4, s[4:5]
	v_fma_f32 v12, -v5, v12, v11
	v_cmp_lt_f32_e64 s[4:5], 0, v12
	v_cndmask_b32_e64 v4, v4, v5, s[4:5]
	v_mul_f32_e32 v5, 0x37800000, v4
	v_cndmask_b32_e32 v4, v4, v5, vcc
	v_mov_b32_e32 v5, 0x260
	v_cmp_class_f32_e32 vcc, v11, v5
	v_cndmask_b32_e32 v4, v4, v11, vcc
	v_div_scale_f32 v5, s[4:5], v4, v4, v2
	v_rcp_f32_e32 v11, v5
	v_fma_f32 v12, -v5, v11, 1.0
	v_fmac_f32_e32 v11, v12, v11
	v_div_scale_f32 v12, vcc, v2, v4, v2
	v_mul_f32_e32 v13, v12, v11
	v_fma_f32 v14, -v5, v13, v12
	v_fmac_f32_e32 v13, v14, v11
	v_fma_f32 v5, -v5, v13, v12
	v_div_fmas_f32 v5, v5, v11, v13
	v_div_fixup_f32 v2, v5, v4, v2
.LBB13_7:
	s_or_b64 exec, exec, s[14:15]
	v_cvt_f64_f32_e32 v[12:13], v6
	v_mul_f64 v[12:13], v[12:13], 0.5
	s_mov_b32 s4, 0x55555555
	v_frexp_mant_f64_e32 v[14:15], v[12:13]
	s_mov_b32 s5, 0x3fe55555
	v_mov_b32_e32 v16, 0x3ff00000
	v_cmp_gt_f64_e32 vcc, s[4:5], v[14:15]
	v_cndmask_b32_e64 v17, v16, 2.0, vcc
	v_mov_b32_e32 v16, 0
	v_mul_f64 v[14:15], v[14:15], v[16:17]
	v_add_f64 v[16:17], v[14:15], 1.0
	v_rcp_f64_e32 v[18:19], v[16:17]
	v_add_f64 v[22:23], v[16:17], -1.0
	v_add_f64 v[20:21], v[14:15], -1.0
	v_add_f64 v[14:15], v[14:15], -v[22:23]
	v_fma_f64 v[22:23], -v[16:17], v[18:19], 1.0
	v_fmac_f64_e32 v[18:19], v[22:23], v[18:19]
	v_fma_f64 v[22:23], -v[16:17], v[18:19], 1.0
	v_fmac_f64_e32 v[18:19], v[22:23], v[18:19]
	v_mul_f64 v[22:23], v[20:21], v[18:19]
	v_mul_f64 v[24:25], v[16:17], v[22:23]
	v_fma_f64 v[16:17], v[22:23], v[16:17], -v[24:25]
	v_fmac_f64_e32 v[16:17], v[22:23], v[14:15]
	v_add_f64 v[14:15], v[24:25], v[16:17]
	v_add_f64 v[26:27], v[20:21], -v[14:15]
	v_add_f64 v[24:25], v[14:15], -v[24:25]
	;; [unrolled: 1-line block ×5, first 2 shown]
	v_add_f64 v[14:15], v[16:17], v[14:15]
	v_fma_f32 v4, v6, v6, -2.0
	v_mov_b32_e32 v5, 0x293fd856
	v_add_f64 v[14:15], v[26:27], v[14:15]
	v_fmac_f32_e32 v5, 0x251e770f, v4
	v_mov_b32_e32 v11, 0xa51e770f
	v_mul_f64 v[14:15], v[18:19], v[14:15]
	v_fmac_f32_e32 v11, v4, v5
	v_add_f64 v[16:17], v[22:23], v[14:15]
	v_add_f32_e32 v11, 0x2d3612e2, v11
	v_add_f64 v[18:19], v[16:17], -v[22:23]
	s_mov_b32 s4, 0xbf559e2b
	v_fma_f32 v5, v4, v11, -v5
	v_add_f64 v[14:15], v[14:15], -v[18:19]
	v_mul_f64 v[18:19], v[16:17], v[16:17]
	v_mov_b32_e32 v20, 0x6b47b09a
	v_mov_b32_e32 v21, 0x3fc38538
	s_mov_b32 s5, 0x3fc3ab76
	v_add_f32_e32 v5, 0x3102e09b, v5
	v_fmac_f64_e32 v[20:21], s[4:5], v[18:19]
	v_mov_b32_e32 v22, 0xd7f4df2e
	v_mov_b32_e32 v23, 0x3fc7474d
	v_fma_f32 v11, v4, v5, -v11
	v_fmac_f64_e32 v[22:23], v[18:19], v[20:21]
	v_mov_b32_e32 v20, 0x16291751
	v_mov_b32_e32 v21, 0x3fcc71c0
	v_add_f32_e32 v11, 0x348815e7, v11
	v_fmac_f64_e32 v[20:21], v[18:19], v[22:23]
	v_mov_b32_e32 v22, 0x9b27acf1
	v_mov_b32_e32 v23, 0x3fd24924
	v_fma_f32 v5, v4, v11, -v5
	v_fmac_f64_e32 v[22:23], v[18:19], v[20:21]
	v_mov_b32_e32 v20, 0x998ef7b6
	v_mov_b32_e32 v21, 0x3fd99999
	v_add_f32_e32 v5, 0x37bfc808, v5
	v_fmac_f64_e32 v[20:21], v[18:19], v[22:23]
	v_mov_b32_e32 v22, 0x55555780
	v_mov_b32_e32 v23, 0x3fe55555
	v_fma_f32 v11, v4, v5, -v11
	v_fmac_f64_e32 v[22:23], v[18:19], v[20:21]
	v_ldexp_f64 v[20:21], v[16:17], 1
	v_mul_f64 v[16:17], v[16:17], v[18:19]
	v_add_f32_e32 v11, 0x3aa5c174, v11
	v_mul_f64 v[16:17], v[16:17], v[22:23]
	v_fma_f32 v5, v4, v11, -v5
	v_add_f64 v[18:19], v[20:21], v[16:17]
	v_add_f32_e32 v5, 0x3d135fb3, v5
	v_add_f64 v[20:21], v[18:19], -v[20:21]
	v_fma_f32 v11, v4, v5, -v11
	v_ldexp_f64 v[14:15], v[14:15], 1
	v_add_f64 v[16:17], v[16:17], -v[20:21]
	v_add_f32_e32 v11, 0x3eb046c4, v11
	v_add_f64 v[14:15], v[14:15], v[16:17]
	v_fma_f32 v4, v4, v11, -v5
	v_frexp_exp_i32_f64_e32 v11, v[12:13]
	v_add_f64 v[16:17], v[18:19], v[14:15]
	v_subbrev_co_u32_e32 v11, vcc, 0, v11, vcc
	v_add_f64 v[18:19], v[16:17], -v[18:19]
	s_mov_b32 s4, 0xfefa39ef
	v_add_f64 v[14:15], v[14:15], -v[18:19]
	v_cvt_f64_i32_e32 v[18:19], v11
	s_mov_b32 s5, 0x3fe62e42
	v_mul_f64 v[20:21], v[18:19], s[4:5]
	v_fma_f64 v[22:23], v[18:19], s[4:5], -v[20:21]
	s_mov_b32 s4, 0x3b39803f
	s_mov_b32 s5, 0x3c7abc9e
	v_fmac_f64_e32 v[22:23], s[4:5], v[18:19]
	v_add_f64 v[18:19], v[20:21], v[22:23]
	v_add_f64 v[20:21], v[18:19], -v[20:21]
	v_add_f64 v[20:21], v[22:23], -v[20:21]
	v_add_f64 v[22:23], v[18:19], v[16:17]
	v_add_f64 v[24:25], v[22:23], -v[18:19]
	v_add_f64 v[26:27], v[22:23], -v[24:25]
	;; [unrolled: 1-line block ×4, first 2 shown]
	v_add_f64 v[16:17], v[16:17], v[18:19]
	v_add_f64 v[18:19], v[20:21], v[14:15]
	v_add_f64 v[24:25], v[18:19], -v[20:21]
	v_add_f64 v[26:27], v[18:19], -v[24:25]
	v_add_f64 v[16:17], v[18:19], v[16:17]
	v_add_f64 v[20:21], v[20:21], -v[26:27]
	v_add_f64 v[14:15], v[14:15], -v[24:25]
	v_add_f64 v[18:19], v[22:23], v[16:17]
	v_add_f64 v[14:15], v[14:15], v[20:21]
	v_add_f64 v[20:21], v[18:19], -v[22:23]
	v_add_f64 v[16:17], v[16:17], -v[20:21]
	s_mov_b32 s4, 0
	v_add_f32_e32 v4, 0xbf090b37, v4
	v_add_f64 v[14:15], v[14:15], v[16:17]
	s_mov_b32 s5, 0x7ff00000
	v_sub_f32_e32 v4, v4, v5
	v_add_f64 v[14:15], v[18:19], v[14:15]
	v_cmp_eq_f64_e32 vcc, s[4:5], v[12:13]
	v_mul_f32_e32 v4, 0.5, v4
	v_cndmask_b32_e32 v11, v14, v12, vcc
	v_cndmask_b32_e32 v14, v15, v13, vcc
	v_mov_b32_e32 v15, 0xfff00000
	v_cmp_neq_f64_e32 vcc, 0, v[12:13]
	v_cvt_f64_f32_e32 v[4:5], v4
	v_cndmask_b32_e32 v13, v15, v14, vcc
	v_cndmask_b32_e32 v12, 0, v11, vcc
	v_cvt_f64_f32_e32 v[14:15], v2
	v_fma_f64 v[4:5], -v[12:13], v[14:15], v[4:5]
	v_cvt_f32_f64_e32 v2, v[4:5]
.LBB13_8:
	s_andn2_saveexec_b64 s[12:13], s[12:13]
	s_cbranch_execz .LBB13_10
; %bb.9:
	s_mov_b32 s14, 0x41000000
	v_div_scale_f32 v2, s[4:5], v6, v6, s14
	v_rcp_f32_e32 v4, v2
	v_div_scale_f32 v5, vcc, s14, v6, s14
	s_mov_b32 s4, 0xbfb8aa3b
	v_fma_f32 v11, -v2, v4, 1.0
	v_fmac_f32_e32 v4, v11, v4
	v_mul_f32_e32 v11, v5, v4
	v_fma_f32 v12, -v2, v11, v5
	v_fmac_f32_e32 v11, v12, v4
	v_fma_f32 v2, -v2, v11, v5
	v_div_fmas_f32 v2, v2, v4, v11
	v_div_fixup_f32 v2, v2, v6, s14
	v_add_f32_e32 v2, -2.0, v2
	v_mov_b32_e32 v4, 0xa397f665
	v_fmac_f32_e32 v4, 0x22c38d2e, v2
	v_mov_b32_e32 v5, 0xa2c38d2e
	v_fmac_f32_e32 v5, v2, v4
	v_add_f32_e32 v5, 0x24704972, v5
	v_fma_f32 v4, v2, v5, -v4
	v_add_f32_e32 v4, 0xa5417ca4, v4
	v_fma_f32 v5, v2, v4, -v5
	;; [unrolled: 2-line block ×17, first 2 shown]
	v_add_f32_e32 v4, 0xb5f5daa4, v4
	v_mul_f32_e32 v11, 0xbfb8aa3b, v6
	v_fma_f32 v5, v2, v4, -v5
	v_rndne_f32_e32 v12, v11
	v_add_f32_e32 v5, 0x376a09fe, v5
	v_sub_f32_e32 v13, v11, v12
	v_fma_f32 v11, v6, s4, -v11
	v_fma_f32 v4, v2, v5, -v4
	v_fmac_f32_e32 v11, 0xb2a5705f, v6
	v_add_f32_e32 v4, 0xb906bcbf, v4
	v_add_f32_e32 v11, v13, v11
	v_fma_f32 v5, v2, v4, -v5
	v_exp_f32_e32 v11, v11
	v_cvt_i32_f32_e32 v12, v12
	v_add_f32_e32 v5, 0x3acdc490, v5
	v_fma_f32 v4, v2, v5, -v4
	v_add_f32_e32 v4, 0xbd00cfb9, v4
	s_mov_b32 s4, 0x42ce8ed0
	v_fma_f32 v2, v2, v4, -v5
	v_ldexp_f32 v4, v11, v12
	v_cmp_nlt_f32_e32 vcc, s4, v6
	s_mov_b32 s4, 0xc2b17218
	v_cndmask_b32_e32 v4, 0, v4, vcc
	v_mov_b32_e32 v11, 0x7f800000
	v_cmp_ngt_f32_e32 vcc, s4, v6
	s_mov_b32 s4, 0xf800000
	v_cndmask_b32_e32 v4, v11, v4, vcc
	v_mul_f32_e32 v11, 0x4f800000, v6
	v_cmp_gt_f32_e32 vcc, s4, v6
	v_cndmask_b32_e32 v6, v6, v11, vcc
	v_sqrt_f32_e32 v11, v6
	v_add_f32_e32 v2, 0x401c2ded, v2
	v_sub_f32_e32 v2, v2, v5
	v_mul_f32_e32 v2, 0.5, v2
	v_mul_f32_e32 v2, v4, v2
	v_add_u32_e32 v4, -1, v11
	v_fma_f32 v5, -v4, v11, v6
	v_cmp_ge_f32_e64 s[4:5], 0, v5
	v_add_u32_e32 v5, 1, v11
	v_cndmask_b32_e64 v4, v11, v4, s[4:5]
	v_fma_f32 v11, -v5, v11, v6
	v_cmp_lt_f32_e64 s[4:5], 0, v11
	v_cndmask_b32_e64 v4, v4, v5, s[4:5]
	v_mul_f32_e32 v5, 0x37800000, v4
	v_cndmask_b32_e32 v4, v4, v5, vcc
	v_mov_b32_e32 v5, 0x260
	v_cmp_class_f32_e32 vcc, v6, v5
	v_cndmask_b32_e32 v4, v4, v6, vcc
	v_div_scale_f32 v5, s[4:5], v4, v4, v2
	v_rcp_f32_e32 v6, v5
	v_fma_f32 v11, -v5, v6, 1.0
	v_fmac_f32_e32 v6, v11, v6
	v_div_scale_f32 v11, vcc, v2, v4, v2
	v_mul_f32_e32 v12, v11, v6
	v_fma_f32 v13, -v5, v12, v11
	v_fmac_f32_e32 v12, v13, v6
	v_fma_f32 v5, -v5, v12, v11
	v_div_fmas_f32 v5, v5, v6, v12
	v_div_fixup_f32 v2, v5, v4, v2
.LBB13_10:
	s_or_b64 exec, exec, s[12:13]
.LBB13_11:
	s_or_b64 exec, exec, s[10:11]
.LBB13_12:
	s_or_b64 exec, exec, s[8:9]
	v_cmp_neq_f32_e32 vcc, 0, v7
	s_and_saveexec_b64 s[8:9], vcc
	s_cbranch_execz .LBB13_24
; %bb.13:
	v_cmp_ngt_f32_e32 vcc, 0, v7
	v_mov_b32_e32 v3, 0x7fc00000
	s_and_saveexec_b64 s[10:11], vcc
	s_cbranch_execz .LBB13_23
; %bb.14:
	v_cmp_ge_f32_e32 vcc, 2.0, v7
	s_and_saveexec_b64 s[4:5], vcc
	s_xor_b64 s[12:13], exec, s[4:5]
	s_cbranch_execz .LBB13_20
; %bb.15:
	s_mov_b32 s4, 0x41000000
	v_cmp_ge_f32_e32 vcc, s4, v7
                                        ; implicit-def: $vgpr3
	s_and_saveexec_b64 s[4:5], vcc
	s_xor_b64 s[4:5], exec, s[4:5]
	s_cbranch_execz .LBB13_17
; %bb.16:
	v_fma_f32 v3, v7, 0.5, -2.0
	v_mov_b32_e32 v4, 0x24199b15
	v_fmac_f32_e32 v4, 0xa2a2e5b9, v3
	v_mov_b32_e32 v5, 0x22a2e5b9
	v_fmac_f32_e32 v5, v3, v4
	v_add_f32_e32 v5, 0xa58c275c, v5
	v_fma_f32 v4, v3, v5, -v4
	v_add_f32_e32 v4, 0x26f736c5, v4
	v_fma_f32 v5, v3, v4, -v5
	v_add_f32_e32 v5, 0xa8528116, v5
	v_fma_f32 v4, v3, v5, -v4
	v_add_f32_e32 v4, 0x29acda32, v4
	v_fma_f32 v5, v3, v4, -v5
	v_add_f32_e32 v5, 0xab08b263, v5
	v_fma_f32 v4, v3, v5, -v4
	v_add_f32_e32 v4, 0x2c4ff17f, v4
	v_fma_f32 v5, v3, v4, -v5
	v_add_f32_e32 v5, 0xad97e4ac, v5
	v_fma_f32 v4, v3, v5, -v4
	v_add_f32_e32 v4, 0x2ed4c5f6, v4
	v_fma_f32 v5, v3, v4, -v5
	v_add_f32_e32 v5, 0xb00ea7f1, v5
	v_fma_f32 v4, v3, v5, -v4
	v_add_f32_e32 v4, 0x3136c81d, v4
	v_fma_f32 v5, v3, v4, -v5
	v_add_f32_e32 v5, 0xb25f57b4, v5
	v_fma_f32 v4, v3, v5, -v4
	v_add_f32_e32 v4, 0x3381dbb5, v4
	v_fma_f32 v5, v3, v4, -v5
	v_add_f32_e32 v5, 0xb48f631c, v5
	v_fma_f32 v4, v3, v5, -v4
	v_add_f32_e32 v4, 0x3595f925, v4
	v_fma_f32 v5, v3, v4, -v5
	v_add_f32_e32 v5, 0xb694337e, v5
	v_fma_f32 v4, v3, v5, -v4
	v_add_f32_e32 v4, 0x3789fac6, v4
	v_fma_f32 v5, v3, v4, -v5
	v_add_f32_e32 v5, 0xb8715933, v5
	v_fma_f32 v4, v3, v5, -v4
	v_add_f32_e32 v4, 0x3945a8dc, v4
	v_fma_f32 v5, v3, v4, -v5
	v_add_f32_e32 v5, 0xba1717e9, v5
	v_fma_f32 v4, v3, v5, -v4
	v_add_f32_e32 v4, 0x3ad6e3ac, v4
	v_fma_f32 v5, v3, v4, -v5
	v_add_f32_e32 v5, 0xbb8db2f1, v5
	v_fma_f32 v4, v3, v5, -v4
	v_add_f32_e32 v4, 0x3c2ccb10, v4
	v_fma_f32 v5, v3, v4, -v5
	v_add_f32_e32 v5, 0xbcc274f8, v5
	v_fma_f32 v4, v3, v5, -v4
	v_mul_f32_e32 v6, 0x3fb8aa3b, v7
	v_add_f32_e32 v4, 0x3d49f456, v4
	s_mov_b32 s14, 0x3fb8aa3b
	v_rndne_f32_e32 v11, v6
	v_fma_f32 v5, v3, v4, -v5
	v_sub_f32_e32 v12, v6, v11
	v_fma_f32 v6, v7, s14, -v6
	v_add_f32_e32 v5, 0xbdc25b82, v5
	v_fmac_f32_e32 v6, 0x32a5705f, v7
	v_fma_f32 v4, v3, v5, -v4
	v_add_f32_e32 v6, v12, v6
	v_add_f32_e32 v4, 0x3e2fbd64, v4
	v_exp_f32_e32 v6, v6
	v_cvt_i32_f32_e32 v11, v11
	v_fma_f32 v5, v3, v4, -v5
	v_add_f32_e32 v5, 0xbe9bff5e, v5
	v_fma_f32 v3, v3, v5, -v4
	s_mov_b32 s14, 0xc2ce8ed0
	v_add_f32_e32 v3, 0x3f2d4275, v3
	v_ldexp_f32 v5, v6, v11
	v_cmp_ngt_f32_e32 vcc, s14, v7
	s_mov_b32 s14, 0x42b17218
	v_cndmask_b32_e32 v5, 0, v5, vcc
	v_mov_b32_e32 v6, 0x7f800000
	v_cmp_nlt_f32_e32 vcc, s14, v7
	v_sub_f32_e32 v3, v3, v4
	v_cndmask_b32_e32 v5, v6, v5, vcc
	v_mul_f32_e32 v3, 0.5, v3
	v_mul_f32_e32 v3, v5, v3
.LBB13_17:
	s_andn2_saveexec_b64 s[14:15], s[4:5]
	s_cbranch_execz .LBB13_19
; %bb.18:
	s_mov_b32 s16, 0x42000000
	v_div_scale_f32 v3, s[4:5], v7, v7, s16
	v_rcp_f32_e32 v4, v3
	v_div_scale_f32 v5, vcc, s16, v7, s16
	s_mov_b32 s4, 0x3fb8aa3b
	v_fma_f32 v6, -v3, v4, 1.0
	v_fmac_f32_e32 v4, v6, v4
	v_mul_f32_e32 v6, v5, v4
	v_fma_f32 v11, -v3, v6, v5
	v_fmac_f32_e32 v6, v11, v4
	v_fma_f32 v3, -v3, v6, v5
	v_div_fmas_f32 v3, v3, v4, v6
	v_div_fixup_f32 v3, v3, v7, s16
	v_add_f32_e32 v3, -2.0, v3
	v_mov_b32_e32 v4, 0xa2b236d3
	v_fmac_f32_e32 v4, 0xa3056dbb, v3
	v_mov_b32_e32 v5, 0x23056dbb
	v_fmac_f32_e32 v5, v3, v4
	v_add_f32_e32 v5, 0x244df0c1, v5
	v_fma_f32 v4, v3, v5, -v4
	v_add_f32_e32 v4, 0x241f9ee8, v4
	v_fma_f32 v5, v3, v4, -v5
	v_add_f32_e32 v5, 0xa5a3005d, v5
	v_fma_f32 v4, v3, v5, -v4
	v_add_f32_e32 v4, 0xa5c5773f, v4
	v_fma_f32 v5, v3, v4, -v5
	v_add_f32_e32 v5, 0x26ff73ed, v5
	v_fma_f32 v4, v3, v5, -v4
	v_add_f32_e32 v4, 0x2789548d, v4
	v_fma_f32 v5, v3, v4, -v5
	v_add_f32_e32 v5, 0xa82c1ff4, v5
	v_fma_f32 v4, v3, v5, -v4
	v_add_f32_e32 v4, 0xa93aecce, v4
	v_fma_f32 v5, v3, v4, -v5
	v_add_f32_e32 v5, 0x288ab7f8, v5
	v_fma_f32 v4, v3, v5, -v4
	v_add_f32_e32 v4, 0x2ad8e463, v4
	v_fma_f32 v5, v3, v4, -v5
	v_add_f32_e32 v5, 0x2b4a1a40, v5
	v_fma_f32 v4, v3, v5, -v4
	v_add_f32_e32 v4, 0xabfc8218, v4
	v_fma_f32 v5, v3, v4, -v5
	v_add_f32_e32 v5, 0xad687eba, v5
	v_fma_f32 v4, v3, v5, -v4
	v_add_f32_e32 v4, 0xae0a88e8, v4
	v_fma_f32 v5, v3, v4, -v5
	v_add_f32_e32 v5, 0x2d5127f5, v5
	v_fma_f32 v4, v3, v5, -v4
	v_add_f32_e32 v4, 0x3007ce66, v4
	v_fma_f32 v5, v3, v4, -v5
	v_add_f32_e32 v5, 0x31696325, v5
	v_fma_f32 v4, v3, v5, -v4
	v_add_f32_e32 v4, 0x32c2b494, v4
	v_mul_f32_e32 v6, 0x3fb8aa3b, v7
	v_fma_f32 v5, v3, v4, -v5
	v_rndne_f32_e32 v11, v6
	v_add_f32_e32 v5, 0x345c003f, v5
	v_sub_f32_e32 v12, v6, v11
	v_fma_f32 v6, v7, s4, -v6
	v_fma_f32 v4, v3, v5, -v4
	v_fmac_f32_e32 v6, 0x32a5705f, v7
	v_add_f32_e32 v4, 0x3642095e, v4
	v_add_f32_e32 v6, v12, v6
	v_fma_f32 v5, v3, v4, -v5
	v_exp_f32_e32 v6, v6
	v_cvt_i32_f32_e32 v11, v11
	v_add_f32_e32 v5, 0x38907d1c, v5
	v_fma_f32 v4, v3, v5, -v4
	v_add_f32_e32 v4, 0x3b5ccc65, v4
	s_mov_b32 s4, 0xc2ce8ed0
	v_fma_f32 v3, v3, v4, -v5
	v_ldexp_f32 v4, v6, v11
	v_cmp_ngt_f32_e32 vcc, s4, v7
	s_mov_b32 s4, 0x42b17218
	v_cndmask_b32_e32 v4, 0, v4, vcc
	v_mov_b32_e32 v6, 0x7f800000
	v_cmp_nlt_f32_e32 vcc, s4, v7
	s_mov_b32 s4, 0xf800000
	v_cndmask_b32_e32 v4, v6, v4, vcc
	v_mul_f32_e32 v6, 0x4f800000, v7
	v_cmp_gt_f32_e32 vcc, s4, v7
	v_cndmask_b32_e32 v6, v7, v6, vcc
	v_sqrt_f32_e32 v11, v6
	v_add_f32_e32 v3, 0x3f4df315, v3
	v_sub_f32_e32 v3, v3, v5
	v_mul_f32_e32 v3, 0.5, v3
	v_mul_f32_e32 v3, v4, v3
	v_add_u32_e32 v4, -1, v11
	v_fma_f32 v5, -v4, v11, v6
	v_cmp_ge_f32_e64 s[4:5], 0, v5
	v_add_u32_e32 v5, 1, v11
	v_cndmask_b32_e64 v4, v11, v4, s[4:5]
	v_fma_f32 v11, -v5, v11, v6
	v_cmp_lt_f32_e64 s[4:5], 0, v11
	v_cndmask_b32_e64 v4, v4, v5, s[4:5]
	v_mul_f32_e32 v5, 0x37800000, v4
	v_cndmask_b32_e32 v4, v4, v5, vcc
	v_mov_b32_e32 v5, 0x260
	v_cmp_class_f32_e32 vcc, v6, v5
	v_cndmask_b32_e32 v4, v4, v6, vcc
	v_div_scale_f32 v5, s[4:5], v4, v4, v3
	v_rcp_f32_e32 v6, v5
	v_fma_f32 v11, -v5, v6, 1.0
	v_fmac_f32_e32 v6, v11, v6
	v_div_scale_f32 v11, vcc, v3, v4, v3
	v_mul_f32_e32 v12, v11, v6
	v_fma_f32 v13, -v5, v12, v11
	v_fmac_f32_e32 v12, v13, v6
	v_fma_f32 v5, -v5, v12, v11
	v_div_fmas_f32 v5, v5, v6, v12
	v_div_fixup_f32 v3, v5, v4, v3
.LBB13_19:
	s_or_b64 exec, exec, s[14:15]
	v_cvt_f64_f32_e32 v[12:13], v7
	v_mul_f64 v[12:13], v[12:13], 0.5
	s_mov_b32 s4, 0x55555555
	v_frexp_mant_f64_e32 v[14:15], v[12:13]
	s_mov_b32 s5, 0x3fe55555
	v_mov_b32_e32 v11, 0x3ff00000
	v_cmp_gt_f64_e32 vcc, s[4:5], v[14:15]
	v_cndmask_b32_e64 v17, v11, 2.0, vcc
	v_mov_b32_e32 v16, 0
	v_mul_f64 v[14:15], v[14:15], v[16:17]
	v_add_f64 v[16:17], v[14:15], 1.0
	v_rcp_f64_e32 v[18:19], v[16:17]
	v_add_f64 v[22:23], v[16:17], -1.0
	v_add_f64 v[20:21], v[14:15], -1.0
	v_add_f64 v[14:15], v[14:15], -v[22:23]
	v_fma_f64 v[22:23], -v[16:17], v[18:19], 1.0
	v_fmac_f64_e32 v[18:19], v[22:23], v[18:19]
	v_fma_f64 v[22:23], -v[16:17], v[18:19], 1.0
	v_fmac_f64_e32 v[18:19], v[22:23], v[18:19]
	v_mul_f64 v[22:23], v[20:21], v[18:19]
	v_mul_f64 v[24:25], v[16:17], v[22:23]
	v_fma_f64 v[16:17], v[22:23], v[16:17], -v[24:25]
	v_fmac_f64_e32 v[16:17], v[22:23], v[14:15]
	v_add_f64 v[14:15], v[24:25], v[16:17]
	v_add_f64 v[26:27], v[20:21], -v[14:15]
	v_add_f64 v[24:25], v[14:15], -v[24:25]
	v_add_f64 v[20:21], v[20:21], -v[26:27]
	v_add_f64 v[14:15], v[20:21], -v[14:15]
	v_add_f64 v[16:17], v[24:25], -v[16:17]
	v_add_f64 v[14:15], v[16:17], v[14:15]
	v_fma_f32 v4, v7, v7, -2.0
	v_mov_b32_e32 v5, 0x293fd856
	v_add_f64 v[14:15], v[26:27], v[14:15]
	v_fmac_f32_e32 v5, 0x251e770f, v4
	v_mov_b32_e32 v6, 0xa51e770f
	v_mul_f64 v[14:15], v[18:19], v[14:15]
	v_fmac_f32_e32 v6, v4, v5
	v_add_f64 v[16:17], v[22:23], v[14:15]
	v_add_f32_e32 v6, 0x2d3612e2, v6
	v_add_f64 v[18:19], v[16:17], -v[22:23]
	s_mov_b32 s4, 0xbf559e2b
	v_fma_f32 v5, v4, v6, -v5
	v_add_f64 v[14:15], v[14:15], -v[18:19]
	v_mul_f64 v[18:19], v[16:17], v[16:17]
	v_mov_b32_e32 v20, 0x6b47b09a
	v_mov_b32_e32 v21, 0x3fc38538
	s_mov_b32 s5, 0x3fc3ab76
	v_add_f32_e32 v5, 0x3102e09b, v5
	v_fmac_f64_e32 v[20:21], s[4:5], v[18:19]
	v_mov_b32_e32 v22, 0xd7f4df2e
	v_mov_b32_e32 v23, 0x3fc7474d
	v_fma_f32 v6, v4, v5, -v6
	v_fmac_f64_e32 v[22:23], v[18:19], v[20:21]
	v_mov_b32_e32 v20, 0x16291751
	v_mov_b32_e32 v21, 0x3fcc71c0
	v_add_f32_e32 v6, 0x348815e7, v6
	v_fmac_f64_e32 v[20:21], v[18:19], v[22:23]
	v_mov_b32_e32 v22, 0x9b27acf1
	v_mov_b32_e32 v23, 0x3fd24924
	v_fma_f32 v5, v4, v6, -v5
	v_fmac_f64_e32 v[22:23], v[18:19], v[20:21]
	v_mov_b32_e32 v20, 0x998ef7b6
	v_mov_b32_e32 v21, 0x3fd99999
	v_add_f32_e32 v5, 0x37bfc808, v5
	v_fmac_f64_e32 v[20:21], v[18:19], v[22:23]
	v_mov_b32_e32 v22, 0x55555780
	v_mov_b32_e32 v23, 0x3fe55555
	v_fma_f32 v6, v4, v5, -v6
	v_fmac_f64_e32 v[22:23], v[18:19], v[20:21]
	v_ldexp_f64 v[20:21], v[16:17], 1
	v_mul_f64 v[16:17], v[16:17], v[18:19]
	v_add_f32_e32 v6, 0x3aa5c174, v6
	v_mul_f64 v[16:17], v[16:17], v[22:23]
	v_fma_f32 v5, v4, v6, -v5
	v_add_f64 v[18:19], v[20:21], v[16:17]
	v_add_f32_e32 v5, 0x3d135fb3, v5
	v_add_f64 v[20:21], v[18:19], -v[20:21]
	v_fma_f32 v6, v4, v5, -v6
	v_ldexp_f64 v[14:15], v[14:15], 1
	v_add_f64 v[16:17], v[16:17], -v[20:21]
	v_add_f32_e32 v6, 0x3eb046c4, v6
	v_add_f64 v[14:15], v[14:15], v[16:17]
	v_fma_f32 v4, v4, v6, -v5
	v_frexp_exp_i32_f64_e32 v6, v[12:13]
	v_add_f64 v[16:17], v[18:19], v[14:15]
	v_subbrev_co_u32_e32 v6, vcc, 0, v6, vcc
	v_add_f64 v[18:19], v[16:17], -v[18:19]
	s_mov_b32 s4, 0xfefa39ef
	v_add_f64 v[14:15], v[14:15], -v[18:19]
	v_cvt_f64_i32_e32 v[18:19], v6
	s_mov_b32 s5, 0x3fe62e42
	v_mul_f64 v[20:21], v[18:19], s[4:5]
	v_fma_f64 v[22:23], v[18:19], s[4:5], -v[20:21]
	s_mov_b32 s4, 0x3b39803f
	s_mov_b32 s5, 0x3c7abc9e
	v_fmac_f64_e32 v[22:23], s[4:5], v[18:19]
	v_add_f64 v[18:19], v[20:21], v[22:23]
	v_add_f64 v[20:21], v[18:19], -v[20:21]
	v_add_f64 v[20:21], v[22:23], -v[20:21]
	v_add_f64 v[22:23], v[18:19], v[16:17]
	v_add_f64 v[24:25], v[22:23], -v[18:19]
	v_add_f64 v[26:27], v[22:23], -v[24:25]
	;; [unrolled: 1-line block ×4, first 2 shown]
	v_add_f64 v[16:17], v[16:17], v[18:19]
	v_add_f64 v[18:19], v[20:21], v[14:15]
	v_add_f64 v[24:25], v[18:19], -v[20:21]
	v_add_f64 v[26:27], v[18:19], -v[24:25]
	v_add_f64 v[16:17], v[18:19], v[16:17]
	v_add_f64 v[20:21], v[20:21], -v[26:27]
	v_add_f64 v[14:15], v[14:15], -v[24:25]
	v_add_f64 v[18:19], v[22:23], v[16:17]
	v_add_f64 v[14:15], v[14:15], v[20:21]
	v_add_f64 v[20:21], v[18:19], -v[22:23]
	v_add_f64 v[16:17], v[16:17], -v[20:21]
	s_mov_b32 s4, 0
	v_add_f32_e32 v4, 0xbf090b37, v4
	v_add_f64 v[14:15], v[14:15], v[16:17]
	s_mov_b32 s5, 0x7ff00000
	v_sub_f32_e32 v4, v4, v5
	v_add_f64 v[14:15], v[18:19], v[14:15]
	v_cmp_eq_f64_e32 vcc, s[4:5], v[12:13]
	v_mul_f32_e32 v4, 0.5, v4
	v_cndmask_b32_e32 v6, v14, v12, vcc
	v_cndmask_b32_e32 v11, v15, v13, vcc
	v_mov_b32_e32 v14, 0xfff00000
	v_cmp_neq_f64_e32 vcc, 0, v[12:13]
	v_cvt_f64_f32_e32 v[4:5], v4
	v_cndmask_b32_e32 v13, v14, v11, vcc
	v_cndmask_b32_e32 v12, 0, v6, vcc
	v_cvt_f64_f32_e32 v[14:15], v3
	v_fma_f64 v[4:5], -v[12:13], v[14:15], v[4:5]
	v_cvt_f32_f64_e32 v3, v[4:5]
.LBB13_20:
	s_andn2_saveexec_b64 s[12:13], s[12:13]
	s_cbranch_execz .LBB13_22
; %bb.21:
	s_mov_b32 s14, 0x41000000
	v_div_scale_f32 v3, s[4:5], v7, v7, s14
	v_rcp_f32_e32 v4, v3
	v_div_scale_f32 v5, vcc, s14, v7, s14
	s_mov_b32 s4, 0xbfb8aa3b
	v_fma_f32 v6, -v3, v4, 1.0
	v_fmac_f32_e32 v4, v6, v4
	v_mul_f32_e32 v6, v5, v4
	v_fma_f32 v11, -v3, v6, v5
	v_fmac_f32_e32 v6, v11, v4
	v_fma_f32 v3, -v3, v6, v5
	v_div_fmas_f32 v3, v3, v4, v6
	v_div_fixup_f32 v3, v3, v7, s14
	v_add_f32_e32 v3, -2.0, v3
	v_mov_b32_e32 v4, 0xa397f665
	v_fmac_f32_e32 v4, 0x22c38d2e, v3
	v_mov_b32_e32 v5, 0xa2c38d2e
	v_fmac_f32_e32 v5, v3, v4
	v_add_f32_e32 v5, 0x24704972, v5
	v_fma_f32 v4, v3, v5, -v4
	v_add_f32_e32 v4, 0xa5417ca4, v4
	v_fma_f32 v5, v3, v4, -v5
	;; [unrolled: 2-line block ×17, first 2 shown]
	v_add_f32_e32 v4, 0xb5f5daa4, v4
	v_mul_f32_e32 v6, 0xbfb8aa3b, v7
	v_fma_f32 v5, v3, v4, -v5
	v_rndne_f32_e32 v11, v6
	v_add_f32_e32 v5, 0x376a09fe, v5
	v_sub_f32_e32 v12, v6, v11
	v_fma_f32 v6, v7, s4, -v6
	v_fma_f32 v4, v3, v5, -v4
	v_fmac_f32_e32 v6, 0xb2a5705f, v7
	v_add_f32_e32 v4, 0xb906bcbf, v4
	v_add_f32_e32 v6, v12, v6
	v_fma_f32 v5, v3, v4, -v5
	v_exp_f32_e32 v6, v6
	v_cvt_i32_f32_e32 v11, v11
	v_add_f32_e32 v5, 0x3acdc490, v5
	v_fma_f32 v4, v3, v5, -v4
	v_add_f32_e32 v4, 0xbd00cfb9, v4
	s_mov_b32 s4, 0x42ce8ed0
	v_fma_f32 v3, v3, v4, -v5
	v_ldexp_f32 v4, v6, v11
	v_cmp_nlt_f32_e32 vcc, s4, v7
	s_mov_b32 s4, 0xc2b17218
	v_cndmask_b32_e32 v4, 0, v4, vcc
	v_mov_b32_e32 v6, 0x7f800000
	v_cmp_ngt_f32_e32 vcc, s4, v7
	s_mov_b32 s4, 0xf800000
	v_cndmask_b32_e32 v4, v6, v4, vcc
	v_mul_f32_e32 v6, 0x4f800000, v7
	v_cmp_gt_f32_e32 vcc, s4, v7
	v_cndmask_b32_e32 v6, v7, v6, vcc
	v_sqrt_f32_e32 v7, v6
	v_add_f32_e32 v3, 0x401c2ded, v3
	v_sub_f32_e32 v3, v3, v5
	v_mul_f32_e32 v3, 0.5, v3
	v_mul_f32_e32 v3, v4, v3
	v_add_u32_e32 v4, -1, v7
	v_fma_f32 v5, -v4, v7, v6
	v_cmp_ge_f32_e64 s[4:5], 0, v5
	v_add_u32_e32 v5, 1, v7
	v_cndmask_b32_e64 v4, v7, v4, s[4:5]
	v_fma_f32 v7, -v5, v7, v6
	v_cmp_lt_f32_e64 s[4:5], 0, v7
	v_cndmask_b32_e64 v4, v4, v5, s[4:5]
	v_mul_f32_e32 v5, 0x37800000, v4
	v_cndmask_b32_e32 v4, v4, v5, vcc
	v_mov_b32_e32 v5, 0x260
	v_cmp_class_f32_e32 vcc, v6, v5
	v_cndmask_b32_e32 v4, v4, v6, vcc
	v_div_scale_f32 v5, s[4:5], v4, v4, v3
	v_rcp_f32_e32 v6, v5
	v_fma_f32 v7, -v5, v6, 1.0
	v_fmac_f32_e32 v6, v7, v6
	v_div_scale_f32 v7, vcc, v3, v4, v3
	v_mul_f32_e32 v11, v7, v6
	v_fma_f32 v12, -v5, v11, v7
	v_fmac_f32_e32 v11, v12, v6
	v_fma_f32 v5, -v5, v11, v7
	v_div_fmas_f32 v5, v5, v6, v11
	v_div_fixup_f32 v3, v5, v4, v3
.LBB13_22:
	s_or_b64 exec, exec, s[12:13]
.LBB13_23:
	s_or_b64 exec, exec, s[10:11]
.LBB13_24:
	s_or_b64 exec, exec, s[8:9]
	v_cmp_neq_f32_e32 vcc, 0, v8
	v_mov_b32_e32 v5, 0x7f800000
	v_mov_b32_e32 v4, 0x7f800000
	s_and_saveexec_b64 s[8:9], vcc
	s_cbranch_execz .LBB13_36
; %bb.25:
	v_cmp_ngt_f32_e32 vcc, 0, v8
	v_mov_b32_e32 v4, 0x7fc00000
	s_and_saveexec_b64 s[10:11], vcc
	s_cbranch_execz .LBB13_35
; %bb.26:
	v_cmp_ge_f32_e32 vcc, 2.0, v8
	s_and_saveexec_b64 s[4:5], vcc
	s_xor_b64 s[12:13], exec, s[4:5]
	s_cbranch_execz .LBB13_32
; %bb.27:
	s_mov_b32 s4, 0x41000000
	v_cmp_ge_f32_e32 vcc, s4, v8
                                        ; implicit-def: $vgpr4
	s_and_saveexec_b64 s[4:5], vcc
	s_xor_b64 s[4:5], exec, s[4:5]
	s_cbranch_execz .LBB13_29
; %bb.28:
	v_fma_f32 v4, v8, 0.5, -2.0
	v_mov_b32_e32 v6, 0x24199b15
	v_fmac_f32_e32 v6, 0xa2a2e5b9, v4
	v_mov_b32_e32 v7, 0x22a2e5b9
	v_fmac_f32_e32 v7, v4, v6
	v_add_f32_e32 v7, 0xa58c275c, v7
	v_fma_f32 v6, v4, v7, -v6
	v_add_f32_e32 v6, 0x26f736c5, v6
	v_fma_f32 v7, v4, v6, -v7
	;; [unrolled: 2-line block ×23, first 2 shown]
	v_mul_f32_e32 v11, 0x3fb8aa3b, v8
	v_add_f32_e32 v6, 0x3d49f456, v6
	s_mov_b32 s14, 0x3fb8aa3b
	v_rndne_f32_e32 v12, v11
	v_fma_f32 v7, v4, v6, -v7
	v_sub_f32_e32 v13, v11, v12
	v_fma_f32 v11, v8, s14, -v11
	v_add_f32_e32 v7, 0xbdc25b82, v7
	v_fmac_f32_e32 v11, 0x32a5705f, v8
	v_fma_f32 v6, v4, v7, -v6
	v_add_f32_e32 v11, v13, v11
	v_add_f32_e32 v6, 0x3e2fbd64, v6
	v_exp_f32_e32 v11, v11
	v_cvt_i32_f32_e32 v12, v12
	v_fma_f32 v7, v4, v6, -v7
	v_add_f32_e32 v7, 0xbe9bff5e, v7
	v_fma_f32 v4, v4, v7, -v6
	s_mov_b32 s14, 0xc2ce8ed0
	v_add_f32_e32 v4, 0x3f2d4275, v4
	v_ldexp_f32 v7, v11, v12
	v_cmp_ngt_f32_e32 vcc, s14, v8
	s_mov_b32 s14, 0x42b17218
	v_cndmask_b32_e32 v7, 0, v7, vcc
	v_mov_b32_e32 v11, 0x7f800000
	v_cmp_nlt_f32_e32 vcc, s14, v8
	v_sub_f32_e32 v4, v4, v6
	v_cndmask_b32_e32 v7, v11, v7, vcc
	v_mul_f32_e32 v4, 0.5, v4
	v_mul_f32_e32 v4, v7, v4
.LBB13_29:
	s_andn2_saveexec_b64 s[14:15], s[4:5]
	s_cbranch_execz .LBB13_31
; %bb.30:
	s_mov_b32 s16, 0x42000000
	v_div_scale_f32 v4, s[4:5], v8, v8, s16
	v_rcp_f32_e32 v6, v4
	v_div_scale_f32 v7, vcc, s16, v8, s16
	s_mov_b32 s4, 0x3fb8aa3b
	v_fma_f32 v11, -v4, v6, 1.0
	v_fmac_f32_e32 v6, v11, v6
	v_mul_f32_e32 v11, v7, v6
	v_fma_f32 v12, -v4, v11, v7
	v_fmac_f32_e32 v11, v12, v6
	v_fma_f32 v4, -v4, v11, v7
	v_div_fmas_f32 v4, v4, v6, v11
	v_div_fixup_f32 v4, v4, v8, s16
	v_add_f32_e32 v4, -2.0, v4
	v_mov_b32_e32 v6, 0xa2b236d3
	v_fmac_f32_e32 v6, 0xa3056dbb, v4
	v_mov_b32_e32 v7, 0x23056dbb
	v_fmac_f32_e32 v7, v4, v6
	v_add_f32_e32 v7, 0x244df0c1, v7
	v_fma_f32 v6, v4, v7, -v6
	v_add_f32_e32 v6, 0x241f9ee8, v6
	v_fma_f32 v7, v4, v6, -v7
	;; [unrolled: 2-line block ×17, first 2 shown]
	v_add_f32_e32 v6, 0x32c2b494, v6
	v_mul_f32_e32 v11, 0x3fb8aa3b, v8
	v_fma_f32 v7, v4, v6, -v7
	v_rndne_f32_e32 v12, v11
	v_add_f32_e32 v7, 0x345c003f, v7
	v_sub_f32_e32 v13, v11, v12
	v_fma_f32 v11, v8, s4, -v11
	v_fma_f32 v6, v4, v7, -v6
	v_fmac_f32_e32 v11, 0x32a5705f, v8
	v_add_f32_e32 v6, 0x3642095e, v6
	v_add_f32_e32 v11, v13, v11
	v_fma_f32 v7, v4, v6, -v7
	v_exp_f32_e32 v11, v11
	v_cvt_i32_f32_e32 v12, v12
	v_add_f32_e32 v7, 0x38907d1c, v7
	v_fma_f32 v6, v4, v7, -v6
	v_add_f32_e32 v6, 0x3b5ccc65, v6
	s_mov_b32 s4, 0xc2ce8ed0
	v_fma_f32 v4, v4, v6, -v7
	v_ldexp_f32 v6, v11, v12
	v_cmp_ngt_f32_e32 vcc, s4, v8
	s_mov_b32 s4, 0x42b17218
	v_cndmask_b32_e32 v6, 0, v6, vcc
	v_mov_b32_e32 v11, 0x7f800000
	v_cmp_nlt_f32_e32 vcc, s4, v8
	s_mov_b32 s4, 0xf800000
	v_cndmask_b32_e32 v6, v11, v6, vcc
	v_mul_f32_e32 v11, 0x4f800000, v8
	v_cmp_gt_f32_e32 vcc, s4, v8
	v_cndmask_b32_e32 v11, v8, v11, vcc
	v_sqrt_f32_e32 v12, v11
	v_add_f32_e32 v4, 0x3f4df315, v4
	v_sub_f32_e32 v4, v4, v7
	v_mul_f32_e32 v4, 0.5, v4
	v_mul_f32_e32 v4, v6, v4
	v_add_u32_e32 v6, -1, v12
	v_fma_f32 v7, -v6, v12, v11
	v_cmp_ge_f32_e64 s[4:5], 0, v7
	v_add_u32_e32 v7, 1, v12
	v_cndmask_b32_e64 v6, v12, v6, s[4:5]
	v_fma_f32 v12, -v7, v12, v11
	v_cmp_lt_f32_e64 s[4:5], 0, v12
	v_cndmask_b32_e64 v6, v6, v7, s[4:5]
	v_mul_f32_e32 v7, 0x37800000, v6
	v_cndmask_b32_e32 v6, v6, v7, vcc
	v_mov_b32_e32 v7, 0x260
	v_cmp_class_f32_e32 vcc, v11, v7
	v_cndmask_b32_e32 v6, v6, v11, vcc
	v_div_scale_f32 v7, s[4:5], v6, v6, v4
	v_rcp_f32_e32 v11, v7
	v_fma_f32 v12, -v7, v11, 1.0
	v_fmac_f32_e32 v11, v12, v11
	v_div_scale_f32 v12, vcc, v4, v6, v4
	v_mul_f32_e32 v13, v12, v11
	v_fma_f32 v14, -v7, v13, v12
	v_fmac_f32_e32 v13, v14, v11
	v_fma_f32 v7, -v7, v13, v12
	v_div_fmas_f32 v7, v7, v11, v13
	v_div_fixup_f32 v4, v7, v6, v4
.LBB13_31:
	s_or_b64 exec, exec, s[14:15]
	v_cvt_f64_f32_e32 v[12:13], v8
	v_mul_f64 v[12:13], v[12:13], 0.5
	s_mov_b32 s4, 0x55555555
	v_frexp_mant_f64_e32 v[14:15], v[12:13]
	s_mov_b32 s5, 0x3fe55555
	v_mov_b32_e32 v16, 0x3ff00000
	v_cmp_gt_f64_e32 vcc, s[4:5], v[14:15]
	v_cndmask_b32_e64 v17, v16, 2.0, vcc
	v_mov_b32_e32 v16, 0
	v_mul_f64 v[14:15], v[14:15], v[16:17]
	v_add_f64 v[16:17], v[14:15], 1.0
	v_rcp_f64_e32 v[18:19], v[16:17]
	v_add_f64 v[22:23], v[16:17], -1.0
	v_add_f64 v[20:21], v[14:15], -1.0
	v_add_f64 v[14:15], v[14:15], -v[22:23]
	v_fma_f64 v[22:23], -v[16:17], v[18:19], 1.0
	v_fmac_f64_e32 v[18:19], v[22:23], v[18:19]
	v_fma_f64 v[22:23], -v[16:17], v[18:19], 1.0
	v_fmac_f64_e32 v[18:19], v[22:23], v[18:19]
	v_mul_f64 v[22:23], v[20:21], v[18:19]
	v_mul_f64 v[24:25], v[16:17], v[22:23]
	v_fma_f64 v[16:17], v[22:23], v[16:17], -v[24:25]
	v_fmac_f64_e32 v[16:17], v[22:23], v[14:15]
	v_add_f64 v[14:15], v[24:25], v[16:17]
	v_add_f64 v[26:27], v[20:21], -v[14:15]
	v_add_f64 v[24:25], v[14:15], -v[24:25]
	;; [unrolled: 1-line block ×5, first 2 shown]
	v_add_f64 v[14:15], v[16:17], v[14:15]
	v_fma_f32 v6, v8, v8, -2.0
	v_mov_b32_e32 v7, 0x293fd856
	v_add_f64 v[14:15], v[26:27], v[14:15]
	v_fmac_f32_e32 v7, 0x251e770f, v6
	v_mov_b32_e32 v11, 0xa51e770f
	v_mul_f64 v[14:15], v[18:19], v[14:15]
	v_fmac_f32_e32 v11, v6, v7
	v_add_f64 v[16:17], v[22:23], v[14:15]
	v_add_f32_e32 v11, 0x2d3612e2, v11
	v_add_f64 v[18:19], v[16:17], -v[22:23]
	s_mov_b32 s4, 0xbf559e2b
	v_fma_f32 v7, v6, v11, -v7
	v_add_f64 v[14:15], v[14:15], -v[18:19]
	v_mul_f64 v[18:19], v[16:17], v[16:17]
	v_mov_b32_e32 v20, 0x6b47b09a
	v_mov_b32_e32 v21, 0x3fc38538
	s_mov_b32 s5, 0x3fc3ab76
	v_add_f32_e32 v7, 0x3102e09b, v7
	v_fmac_f64_e32 v[20:21], s[4:5], v[18:19]
	v_mov_b32_e32 v22, 0xd7f4df2e
	v_mov_b32_e32 v23, 0x3fc7474d
	v_fma_f32 v11, v6, v7, -v11
	v_fmac_f64_e32 v[22:23], v[18:19], v[20:21]
	v_mov_b32_e32 v20, 0x16291751
	v_mov_b32_e32 v21, 0x3fcc71c0
	v_add_f32_e32 v11, 0x348815e7, v11
	v_fmac_f64_e32 v[20:21], v[18:19], v[22:23]
	v_mov_b32_e32 v22, 0x9b27acf1
	v_mov_b32_e32 v23, 0x3fd24924
	v_fma_f32 v7, v6, v11, -v7
	v_fmac_f64_e32 v[22:23], v[18:19], v[20:21]
	v_mov_b32_e32 v20, 0x998ef7b6
	v_mov_b32_e32 v21, 0x3fd99999
	v_add_f32_e32 v7, 0x37bfc808, v7
	v_fmac_f64_e32 v[20:21], v[18:19], v[22:23]
	v_mov_b32_e32 v22, 0x55555780
	v_mov_b32_e32 v23, 0x3fe55555
	v_fma_f32 v11, v6, v7, -v11
	v_fmac_f64_e32 v[22:23], v[18:19], v[20:21]
	v_ldexp_f64 v[20:21], v[16:17], 1
	v_mul_f64 v[16:17], v[16:17], v[18:19]
	v_add_f32_e32 v11, 0x3aa5c174, v11
	v_mul_f64 v[16:17], v[16:17], v[22:23]
	v_fma_f32 v7, v6, v11, -v7
	v_add_f64 v[18:19], v[20:21], v[16:17]
	v_add_f32_e32 v7, 0x3d135fb3, v7
	v_add_f64 v[20:21], v[18:19], -v[20:21]
	v_fma_f32 v11, v6, v7, -v11
	v_ldexp_f64 v[14:15], v[14:15], 1
	v_add_f64 v[16:17], v[16:17], -v[20:21]
	v_add_f32_e32 v11, 0x3eb046c4, v11
	v_add_f64 v[14:15], v[14:15], v[16:17]
	v_fma_f32 v6, v6, v11, -v7
	v_frexp_exp_i32_f64_e32 v11, v[12:13]
	v_add_f64 v[16:17], v[18:19], v[14:15]
	v_subbrev_co_u32_e32 v11, vcc, 0, v11, vcc
	v_add_f64 v[18:19], v[16:17], -v[18:19]
	s_mov_b32 s4, 0xfefa39ef
	v_add_f64 v[14:15], v[14:15], -v[18:19]
	v_cvt_f64_i32_e32 v[18:19], v11
	s_mov_b32 s5, 0x3fe62e42
	v_mul_f64 v[20:21], v[18:19], s[4:5]
	v_fma_f64 v[22:23], v[18:19], s[4:5], -v[20:21]
	s_mov_b32 s4, 0x3b39803f
	s_mov_b32 s5, 0x3c7abc9e
	v_fmac_f64_e32 v[22:23], s[4:5], v[18:19]
	v_add_f64 v[18:19], v[20:21], v[22:23]
	v_add_f64 v[20:21], v[18:19], -v[20:21]
	v_add_f64 v[20:21], v[22:23], -v[20:21]
	v_add_f64 v[22:23], v[18:19], v[16:17]
	v_add_f64 v[24:25], v[22:23], -v[18:19]
	v_add_f64 v[26:27], v[22:23], -v[24:25]
	;; [unrolled: 1-line block ×4, first 2 shown]
	v_add_f64 v[16:17], v[16:17], v[18:19]
	v_add_f64 v[18:19], v[20:21], v[14:15]
	v_add_f64 v[24:25], v[18:19], -v[20:21]
	v_add_f64 v[26:27], v[18:19], -v[24:25]
	v_add_f64 v[16:17], v[18:19], v[16:17]
	v_add_f64 v[20:21], v[20:21], -v[26:27]
	v_add_f64 v[14:15], v[14:15], -v[24:25]
	v_add_f64 v[18:19], v[22:23], v[16:17]
	v_add_f64 v[14:15], v[14:15], v[20:21]
	v_add_f64 v[20:21], v[18:19], -v[22:23]
	v_add_f64 v[16:17], v[16:17], -v[20:21]
	s_mov_b32 s4, 0
	v_add_f32_e32 v6, 0xbf090b37, v6
	v_add_f64 v[14:15], v[14:15], v[16:17]
	s_mov_b32 s5, 0x7ff00000
	v_sub_f32_e32 v6, v6, v7
	v_add_f64 v[14:15], v[18:19], v[14:15]
	v_cmp_eq_f64_e32 vcc, s[4:5], v[12:13]
	v_mul_f32_e32 v6, 0.5, v6
	v_cndmask_b32_e32 v11, v14, v12, vcc
	v_cndmask_b32_e32 v14, v15, v13, vcc
	v_mov_b32_e32 v15, 0xfff00000
	v_cmp_neq_f64_e32 vcc, 0, v[12:13]
	v_cvt_f64_f32_e32 v[6:7], v6
	v_cndmask_b32_e32 v13, v15, v14, vcc
	v_cndmask_b32_e32 v12, 0, v11, vcc
	v_cvt_f64_f32_e32 v[14:15], v4
	v_fma_f64 v[6:7], -v[12:13], v[14:15], v[6:7]
	v_cvt_f32_f64_e32 v4, v[6:7]
.LBB13_32:
	s_andn2_saveexec_b64 s[12:13], s[12:13]
	s_cbranch_execz .LBB13_34
; %bb.33:
	s_mov_b32 s14, 0x41000000
	v_div_scale_f32 v4, s[4:5], v8, v8, s14
	v_rcp_f32_e32 v6, v4
	v_div_scale_f32 v7, vcc, s14, v8, s14
	s_mov_b32 s4, 0xbfb8aa3b
	v_fma_f32 v11, -v4, v6, 1.0
	v_fmac_f32_e32 v6, v11, v6
	v_mul_f32_e32 v11, v7, v6
	v_fma_f32 v12, -v4, v11, v7
	v_fmac_f32_e32 v11, v12, v6
	v_fma_f32 v4, -v4, v11, v7
	v_div_fmas_f32 v4, v4, v6, v11
	v_div_fixup_f32 v4, v4, v8, s14
	v_add_f32_e32 v4, -2.0, v4
	v_mov_b32_e32 v6, 0xa397f665
	v_fmac_f32_e32 v6, 0x22c38d2e, v4
	v_mov_b32_e32 v7, 0xa2c38d2e
	v_fmac_f32_e32 v7, v4, v6
	v_add_f32_e32 v7, 0x24704972, v7
	v_fma_f32 v6, v4, v7, -v6
	v_add_f32_e32 v6, 0xa5417ca4, v6
	v_fma_f32 v7, v4, v6, -v7
	;; [unrolled: 2-line block ×17, first 2 shown]
	v_add_f32_e32 v6, 0xb5f5daa4, v6
	v_mul_f32_e32 v11, 0xbfb8aa3b, v8
	v_fma_f32 v7, v4, v6, -v7
	v_rndne_f32_e32 v12, v11
	v_add_f32_e32 v7, 0x376a09fe, v7
	v_sub_f32_e32 v13, v11, v12
	v_fma_f32 v11, v8, s4, -v11
	v_fma_f32 v6, v4, v7, -v6
	v_fmac_f32_e32 v11, 0xb2a5705f, v8
	v_add_f32_e32 v6, 0xb906bcbf, v6
	v_add_f32_e32 v11, v13, v11
	v_fma_f32 v7, v4, v6, -v7
	v_exp_f32_e32 v11, v11
	v_cvt_i32_f32_e32 v12, v12
	v_add_f32_e32 v7, 0x3acdc490, v7
	v_fma_f32 v6, v4, v7, -v6
	v_add_f32_e32 v6, 0xbd00cfb9, v6
	s_mov_b32 s4, 0x42ce8ed0
	v_fma_f32 v4, v4, v6, -v7
	v_ldexp_f32 v6, v11, v12
	v_cmp_nlt_f32_e32 vcc, s4, v8
	s_mov_b32 s4, 0xc2b17218
	v_cndmask_b32_e32 v6, 0, v6, vcc
	v_mov_b32_e32 v11, 0x7f800000
	v_cmp_ngt_f32_e32 vcc, s4, v8
	s_mov_b32 s4, 0xf800000
	v_cndmask_b32_e32 v6, v11, v6, vcc
	v_mul_f32_e32 v11, 0x4f800000, v8
	v_cmp_gt_f32_e32 vcc, s4, v8
	v_cndmask_b32_e32 v8, v8, v11, vcc
	v_sqrt_f32_e32 v11, v8
	v_add_f32_e32 v4, 0x401c2ded, v4
	v_sub_f32_e32 v4, v4, v7
	v_mul_f32_e32 v4, 0.5, v4
	v_mul_f32_e32 v4, v6, v4
	v_add_u32_e32 v6, -1, v11
	v_fma_f32 v7, -v6, v11, v8
	v_cmp_ge_f32_e64 s[4:5], 0, v7
	v_add_u32_e32 v7, 1, v11
	v_cndmask_b32_e64 v6, v11, v6, s[4:5]
	v_fma_f32 v11, -v7, v11, v8
	v_cmp_lt_f32_e64 s[4:5], 0, v11
	v_cndmask_b32_e64 v6, v6, v7, s[4:5]
	v_mul_f32_e32 v7, 0x37800000, v6
	v_cndmask_b32_e32 v6, v6, v7, vcc
	v_mov_b32_e32 v7, 0x260
	v_cmp_class_f32_e32 vcc, v8, v7
	v_cndmask_b32_e32 v6, v6, v8, vcc
	v_div_scale_f32 v7, s[4:5], v6, v6, v4
	v_rcp_f32_e32 v8, v7
	v_fma_f32 v11, -v7, v8, 1.0
	v_fmac_f32_e32 v8, v11, v8
	v_div_scale_f32 v11, vcc, v4, v6, v4
	v_mul_f32_e32 v12, v11, v8
	v_fma_f32 v13, -v7, v12, v11
	v_fmac_f32_e32 v12, v13, v8
	v_fma_f32 v7, -v7, v12, v11
	v_div_fmas_f32 v7, v7, v8, v12
	v_div_fixup_f32 v4, v7, v6, v4
.LBB13_34:
	s_or_b64 exec, exec, s[12:13]
.LBB13_35:
	s_or_b64 exec, exec, s[10:11]
.LBB13_36:
	s_or_b64 exec, exec, s[8:9]
	v_cmp_neq_f32_e32 vcc, 0, v9
	s_and_saveexec_b64 s[8:9], vcc
	s_cbranch_execz .LBB13_48
; %bb.37:
	v_cmp_ngt_f32_e32 vcc, 0, v9
	v_mov_b32_e32 v5, 0x7fc00000
	s_and_saveexec_b64 s[10:11], vcc
	s_cbranch_execz .LBB13_47
; %bb.38:
	v_cmp_ge_f32_e32 vcc, 2.0, v9
	s_and_saveexec_b64 s[4:5], vcc
	s_xor_b64 s[12:13], exec, s[4:5]
	s_cbranch_execz .LBB13_44
; %bb.39:
	s_mov_b32 s4, 0x41000000
	v_cmp_ge_f32_e32 vcc, s4, v9
                                        ; implicit-def: $vgpr5
	s_and_saveexec_b64 s[4:5], vcc
	s_xor_b64 s[4:5], exec, s[4:5]
	s_cbranch_execz .LBB13_41
; %bb.40:
	v_fma_f32 v5, v9, 0.5, -2.0
	v_mov_b32_e32 v6, 0x24199b15
	v_fmac_f32_e32 v6, 0xa2a2e5b9, v5
	v_mov_b32_e32 v7, 0x22a2e5b9
	v_fmac_f32_e32 v7, v5, v6
	v_add_f32_e32 v7, 0xa58c275c, v7
	v_fma_f32 v6, v5, v7, -v6
	v_add_f32_e32 v6, 0x26f736c5, v6
	v_fma_f32 v7, v5, v6, -v7
	;; [unrolled: 2-line block ×23, first 2 shown]
	v_mul_f32_e32 v8, 0x3fb8aa3b, v9
	v_add_f32_e32 v6, 0x3d49f456, v6
	s_mov_b32 s14, 0x3fb8aa3b
	v_rndne_f32_e32 v11, v8
	v_fma_f32 v7, v5, v6, -v7
	v_sub_f32_e32 v12, v8, v11
	v_fma_f32 v8, v9, s14, -v8
	v_add_f32_e32 v7, 0xbdc25b82, v7
	v_fmac_f32_e32 v8, 0x32a5705f, v9
	v_fma_f32 v6, v5, v7, -v6
	v_add_f32_e32 v8, v12, v8
	v_add_f32_e32 v6, 0x3e2fbd64, v6
	v_exp_f32_e32 v8, v8
	v_cvt_i32_f32_e32 v11, v11
	v_fma_f32 v7, v5, v6, -v7
	v_add_f32_e32 v7, 0xbe9bff5e, v7
	v_fma_f32 v5, v5, v7, -v6
	s_mov_b32 s14, 0xc2ce8ed0
	v_add_f32_e32 v5, 0x3f2d4275, v5
	v_ldexp_f32 v7, v8, v11
	v_cmp_ngt_f32_e32 vcc, s14, v9
	s_mov_b32 s14, 0x42b17218
	v_cndmask_b32_e32 v7, 0, v7, vcc
	v_mov_b32_e32 v8, 0x7f800000
	v_cmp_nlt_f32_e32 vcc, s14, v9
	v_sub_f32_e32 v5, v5, v6
	v_cndmask_b32_e32 v7, v8, v7, vcc
	v_mul_f32_e32 v5, 0.5, v5
	v_mul_f32_e32 v5, v7, v5
.LBB13_41:
	s_andn2_saveexec_b64 s[14:15], s[4:5]
	s_cbranch_execz .LBB13_43
; %bb.42:
	s_mov_b32 s16, 0x42000000
	v_div_scale_f32 v5, s[4:5], v9, v9, s16
	v_rcp_f32_e32 v6, v5
	v_div_scale_f32 v7, vcc, s16, v9, s16
	s_mov_b32 s4, 0x3fb8aa3b
	v_fma_f32 v8, -v5, v6, 1.0
	v_fmac_f32_e32 v6, v8, v6
	v_mul_f32_e32 v8, v7, v6
	v_fma_f32 v11, -v5, v8, v7
	v_fmac_f32_e32 v8, v11, v6
	v_fma_f32 v5, -v5, v8, v7
	v_div_fmas_f32 v5, v5, v6, v8
	v_div_fixup_f32 v5, v5, v9, s16
	v_add_f32_e32 v5, -2.0, v5
	v_mov_b32_e32 v6, 0xa2b236d3
	v_fmac_f32_e32 v6, 0xa3056dbb, v5
	v_mov_b32_e32 v7, 0x23056dbb
	v_fmac_f32_e32 v7, v5, v6
	v_add_f32_e32 v7, 0x244df0c1, v7
	v_fma_f32 v6, v5, v7, -v6
	v_add_f32_e32 v6, 0x241f9ee8, v6
	v_fma_f32 v7, v5, v6, -v7
	;; [unrolled: 2-line block ×17, first 2 shown]
	v_add_f32_e32 v6, 0x32c2b494, v6
	v_mul_f32_e32 v8, 0x3fb8aa3b, v9
	v_fma_f32 v7, v5, v6, -v7
	v_rndne_f32_e32 v11, v8
	v_add_f32_e32 v7, 0x345c003f, v7
	v_sub_f32_e32 v12, v8, v11
	v_fma_f32 v8, v9, s4, -v8
	v_fma_f32 v6, v5, v7, -v6
	v_fmac_f32_e32 v8, 0x32a5705f, v9
	v_add_f32_e32 v6, 0x3642095e, v6
	v_add_f32_e32 v8, v12, v8
	v_fma_f32 v7, v5, v6, -v7
	v_exp_f32_e32 v8, v8
	v_cvt_i32_f32_e32 v11, v11
	v_add_f32_e32 v7, 0x38907d1c, v7
	v_fma_f32 v6, v5, v7, -v6
	v_add_f32_e32 v6, 0x3b5ccc65, v6
	s_mov_b32 s4, 0xc2ce8ed0
	v_fma_f32 v5, v5, v6, -v7
	v_ldexp_f32 v6, v8, v11
	v_cmp_ngt_f32_e32 vcc, s4, v9
	s_mov_b32 s4, 0x42b17218
	v_cndmask_b32_e32 v6, 0, v6, vcc
	v_mov_b32_e32 v8, 0x7f800000
	v_cmp_nlt_f32_e32 vcc, s4, v9
	s_mov_b32 s4, 0xf800000
	v_cndmask_b32_e32 v6, v8, v6, vcc
	v_mul_f32_e32 v8, 0x4f800000, v9
	v_cmp_gt_f32_e32 vcc, s4, v9
	v_cndmask_b32_e32 v8, v9, v8, vcc
	v_sqrt_f32_e32 v11, v8
	v_add_f32_e32 v5, 0x3f4df315, v5
	v_sub_f32_e32 v5, v5, v7
	v_mul_f32_e32 v5, 0.5, v5
	v_mul_f32_e32 v5, v6, v5
	v_add_u32_e32 v6, -1, v11
	v_fma_f32 v7, -v6, v11, v8
	v_cmp_ge_f32_e64 s[4:5], 0, v7
	v_add_u32_e32 v7, 1, v11
	v_cndmask_b32_e64 v6, v11, v6, s[4:5]
	v_fma_f32 v11, -v7, v11, v8
	v_cmp_lt_f32_e64 s[4:5], 0, v11
	v_cndmask_b32_e64 v6, v6, v7, s[4:5]
	v_mul_f32_e32 v7, 0x37800000, v6
	v_cndmask_b32_e32 v6, v6, v7, vcc
	v_mov_b32_e32 v7, 0x260
	v_cmp_class_f32_e32 vcc, v8, v7
	v_cndmask_b32_e32 v6, v6, v8, vcc
	v_div_scale_f32 v7, s[4:5], v6, v6, v5
	v_rcp_f32_e32 v8, v7
	v_fma_f32 v11, -v7, v8, 1.0
	v_fmac_f32_e32 v8, v11, v8
	v_div_scale_f32 v11, vcc, v5, v6, v5
	v_mul_f32_e32 v12, v11, v8
	v_fma_f32 v13, -v7, v12, v11
	v_fmac_f32_e32 v12, v13, v8
	v_fma_f32 v7, -v7, v12, v11
	v_div_fmas_f32 v7, v7, v8, v12
	v_div_fixup_f32 v5, v7, v6, v5
.LBB13_43:
	s_or_b64 exec, exec, s[14:15]
	v_fma_f32 v6, v9, v9, -2.0
	v_mov_b32_e32 v7, 0x293fd856
	v_fmac_f32_e32 v7, 0x251e770f, v6
	v_mov_b32_e32 v8, 0xa51e770f
	v_fmac_f32_e32 v8, v6, v7
	v_add_f32_e32 v8, 0x2d3612e2, v8
	v_fma_f32 v7, v6, v8, -v7
	v_add_f32_e32 v7, 0x3102e09b, v7
	v_fma_f32 v8, v6, v7, -v8
	;; [unrolled: 2-line block ×7, first 2 shown]
	v_cvt_f64_f32_e32 v[8:9], v9
	v_mul_f64 v[8:9], v[8:9], 0.5
	s_mov_b32 s4, 0x55555555
	v_frexp_mant_f64_e32 v[12:13], v[8:9]
	s_mov_b32 s5, 0x3fe55555
	v_mov_b32_e32 v14, 0x3ff00000
	v_cmp_gt_f64_e32 vcc, s[4:5], v[12:13]
	v_cndmask_b32_e64 v15, v14, 2.0, vcc
	v_mov_b32_e32 v14, 0
	v_mul_f64 v[12:13], v[12:13], v[14:15]
	v_add_f64 v[14:15], v[12:13], 1.0
	v_rcp_f64_e32 v[16:17], v[14:15]
	v_add_f64 v[20:21], v[14:15], -1.0
	v_add_f64 v[18:19], v[12:13], -1.0
	v_add_f64 v[12:13], v[12:13], -v[20:21]
	v_fma_f64 v[20:21], -v[14:15], v[16:17], 1.0
	v_fmac_f64_e32 v[16:17], v[20:21], v[16:17]
	v_fma_f64 v[20:21], -v[14:15], v[16:17], 1.0
	v_fmac_f64_e32 v[16:17], v[20:21], v[16:17]
	v_mul_f64 v[20:21], v[18:19], v[16:17]
	v_mul_f64 v[22:23], v[14:15], v[20:21]
	v_fma_f64 v[14:15], v[20:21], v[14:15], -v[22:23]
	v_fmac_f64_e32 v[14:15], v[20:21], v[12:13]
	v_add_f64 v[12:13], v[22:23], v[14:15]
	v_add_f64 v[24:25], v[18:19], -v[12:13]
	v_add_f64 v[22:23], v[12:13], -v[22:23]
	v_add_f64 v[18:19], v[18:19], -v[24:25]
	v_add_f64 v[12:13], v[18:19], -v[12:13]
	v_add_f64 v[14:15], v[22:23], -v[14:15]
	v_add_f64 v[12:13], v[14:15], v[12:13]
	v_add_f64 v[12:13], v[24:25], v[12:13]
	v_mul_f64 v[12:13], v[16:17], v[12:13]
	v_add_f64 v[14:15], v[20:21], v[12:13]
	v_add_f64 v[16:17], v[14:15], -v[20:21]
	s_mov_b32 s4, 0xbf559e2b
	v_add_f64 v[12:13], v[12:13], -v[16:17]
	v_mul_f64 v[16:17], v[14:15], v[14:15]
	v_mov_b32_e32 v18, 0x6b47b09a
	v_mov_b32_e32 v19, 0x3fc38538
	s_mov_b32 s5, 0x3fc3ab76
	v_fmac_f64_e32 v[18:19], s[4:5], v[16:17]
	v_mov_b32_e32 v20, 0xd7f4df2e
	v_mov_b32_e32 v21, 0x3fc7474d
	v_fmac_f64_e32 v[20:21], v[16:17], v[18:19]
	v_mov_b32_e32 v18, 0x16291751
	v_mov_b32_e32 v19, 0x3fcc71c0
	;; [unrolled: 3-line block ×5, first 2 shown]
	v_fmac_f64_e32 v[20:21], v[16:17], v[18:19]
	v_ldexp_f64 v[18:19], v[14:15], 1
	v_mul_f64 v[14:15], v[14:15], v[16:17]
	v_mul_f64 v[14:15], v[14:15], v[20:21]
	v_add_f64 v[16:17], v[18:19], v[14:15]
	v_add_f64 v[18:19], v[16:17], -v[18:19]
	v_ldexp_f64 v[12:13], v[12:13], 1
	v_add_f64 v[14:15], v[14:15], -v[18:19]
	v_add_f64 v[12:13], v[12:13], v[14:15]
	v_frexp_exp_i32_f64_e32 v11, v[8:9]
	v_add_f64 v[14:15], v[16:17], v[12:13]
	v_subbrev_co_u32_e32 v11, vcc, 0, v11, vcc
	v_add_f64 v[16:17], v[14:15], -v[16:17]
	s_mov_b32 s4, 0xfefa39ef
	v_add_f64 v[12:13], v[12:13], -v[16:17]
	v_cvt_f64_i32_e32 v[16:17], v11
	s_mov_b32 s5, 0x3fe62e42
	v_mul_f64 v[18:19], v[16:17], s[4:5]
	v_fma_f64 v[20:21], v[16:17], s[4:5], -v[18:19]
	s_mov_b32 s4, 0x3b39803f
	s_mov_b32 s5, 0x3c7abc9e
	v_fmac_f64_e32 v[20:21], s[4:5], v[16:17]
	v_add_f64 v[16:17], v[18:19], v[20:21]
	v_add_f64 v[18:19], v[16:17], -v[18:19]
	v_add_f64 v[18:19], v[20:21], -v[18:19]
	v_add_f64 v[20:21], v[16:17], v[14:15]
	v_add_f64 v[22:23], v[20:21], -v[16:17]
	v_add_f64 v[24:25], v[20:21], -v[22:23]
	;; [unrolled: 1-line block ×4, first 2 shown]
	v_add_f64 v[14:15], v[14:15], v[16:17]
	v_add_f64 v[16:17], v[18:19], v[12:13]
	v_add_f64 v[22:23], v[16:17], -v[18:19]
	v_add_f64 v[24:25], v[16:17], -v[22:23]
	v_add_f64 v[14:15], v[16:17], v[14:15]
	v_add_f64 v[18:19], v[18:19], -v[24:25]
	v_add_f64 v[12:13], v[12:13], -v[22:23]
	v_add_f64 v[16:17], v[20:21], v[14:15]
	v_add_f64 v[12:13], v[12:13], v[18:19]
	v_add_f64 v[18:19], v[16:17], -v[20:21]
	v_add_f64 v[14:15], v[14:15], -v[18:19]
	s_mov_b32 s4, 0
	v_add_f32_e32 v6, 0xbf090b37, v6
	v_add_f64 v[12:13], v[12:13], v[14:15]
	s_mov_b32 s5, 0x7ff00000
	v_sub_f32_e32 v6, v6, v7
	v_add_f64 v[12:13], v[16:17], v[12:13]
	v_cmp_eq_f64_e32 vcc, s[4:5], v[8:9]
	v_mul_f32_e32 v6, 0.5, v6
	v_cndmask_b32_e32 v11, v12, v8, vcc
	v_cndmask_b32_e32 v12, v13, v9, vcc
	v_mov_b32_e32 v13, 0xfff00000
	v_cmp_neq_f64_e32 vcc, 0, v[8:9]
	v_cvt_f64_f32_e32 v[6:7], v6
	v_cndmask_b32_e32 v9, v13, v12, vcc
	v_cndmask_b32_e32 v8, 0, v11, vcc
	v_cvt_f64_f32_e32 v[12:13], v5
	v_fma_f64 v[6:7], -v[8:9], v[12:13], v[6:7]
	v_cvt_f32_f64_e32 v5, v[6:7]
                                        ; implicit-def: $vgpr6_vgpr7_vgpr8_vgpr9
.LBB13_44:
	s_andn2_saveexec_b64 s[12:13], s[12:13]
	s_cbranch_execz .LBB13_46
; %bb.45:
	s_mov_b32 s14, 0x41000000
	v_div_scale_f32 v5, s[4:5], v9, v9, s14
	v_rcp_f32_e32 v6, v5
	v_div_scale_f32 v7, vcc, s14, v9, s14
	s_mov_b32 s4, 0xbfb8aa3b
	v_fma_f32 v8, -v5, v6, 1.0
	v_fmac_f32_e32 v6, v8, v6
	v_mul_f32_e32 v8, v7, v6
	v_fma_f32 v11, -v5, v8, v7
	v_fmac_f32_e32 v8, v11, v6
	v_fma_f32 v5, -v5, v8, v7
	v_div_fmas_f32 v5, v5, v6, v8
	v_div_fixup_f32 v5, v5, v9, s14
	v_add_f32_e32 v5, -2.0, v5
	v_mov_b32_e32 v6, 0xa397f665
	v_fmac_f32_e32 v6, 0x22c38d2e, v5
	v_mov_b32_e32 v7, 0xa2c38d2e
	v_fmac_f32_e32 v7, v5, v6
	v_add_f32_e32 v7, 0x24704972, v7
	v_fma_f32 v6, v5, v7, -v6
	v_add_f32_e32 v6, 0xa5417ca4, v6
	v_fma_f32 v7, v5, v6, -v7
	;; [unrolled: 2-line block ×17, first 2 shown]
	v_add_f32_e32 v6, 0xb5f5daa4, v6
	v_mul_f32_e32 v8, 0xbfb8aa3b, v9
	v_fma_f32 v7, v5, v6, -v7
	v_rndne_f32_e32 v11, v8
	v_add_f32_e32 v7, 0x376a09fe, v7
	v_sub_f32_e32 v12, v8, v11
	v_fma_f32 v8, v9, s4, -v8
	v_fma_f32 v6, v5, v7, -v6
	v_fmac_f32_e32 v8, 0xb2a5705f, v9
	v_add_f32_e32 v6, 0xb906bcbf, v6
	v_add_f32_e32 v8, v12, v8
	v_fma_f32 v7, v5, v6, -v7
	v_exp_f32_e32 v8, v8
	v_cvt_i32_f32_e32 v11, v11
	v_add_f32_e32 v7, 0x3acdc490, v7
	v_fma_f32 v6, v5, v7, -v6
	v_add_f32_e32 v6, 0xbd00cfb9, v6
	s_mov_b32 s4, 0x42ce8ed0
	v_fma_f32 v5, v5, v6, -v7
	v_ldexp_f32 v6, v8, v11
	v_cmp_nlt_f32_e32 vcc, s4, v9
	s_mov_b32 s4, 0xc2b17218
	v_cndmask_b32_e32 v6, 0, v6, vcc
	v_mov_b32_e32 v8, 0x7f800000
	v_cmp_ngt_f32_e32 vcc, s4, v9
	s_mov_b32 s4, 0xf800000
	v_cndmask_b32_e32 v6, v8, v6, vcc
	v_mul_f32_e32 v8, 0x4f800000, v9
	v_cmp_gt_f32_e32 vcc, s4, v9
	v_cndmask_b32_e32 v8, v9, v8, vcc
	v_sqrt_f32_e32 v9, v8
	v_add_f32_e32 v5, 0x401c2ded, v5
	v_sub_f32_e32 v5, v5, v7
	v_mul_f32_e32 v5, 0.5, v5
	v_mul_f32_e32 v5, v6, v5
	v_add_u32_e32 v6, -1, v9
	v_fma_f32 v7, -v6, v9, v8
	v_cmp_ge_f32_e64 s[4:5], 0, v7
	v_add_u32_e32 v7, 1, v9
	v_cndmask_b32_e64 v6, v9, v6, s[4:5]
	v_fma_f32 v9, -v7, v9, v8
	v_cmp_lt_f32_e64 s[4:5], 0, v9
	v_cndmask_b32_e64 v6, v6, v7, s[4:5]
	v_mul_f32_e32 v7, 0x37800000, v6
	v_cndmask_b32_e32 v6, v6, v7, vcc
	v_mov_b32_e32 v7, 0x260
	v_cmp_class_f32_e32 vcc, v8, v7
	v_cndmask_b32_e32 v6, v6, v8, vcc
	v_div_scale_f32 v7, s[4:5], v6, v6, v5
	v_rcp_f32_e32 v8, v7
	v_fma_f32 v9, -v7, v8, 1.0
	v_fmac_f32_e32 v8, v9, v8
	v_div_scale_f32 v9, vcc, v5, v6, v5
	v_mul_f32_e32 v11, v9, v8
	v_fma_f32 v12, -v7, v11, v9
	v_fmac_f32_e32 v11, v12, v8
	v_fma_f32 v7, -v7, v11, v9
	v_div_fmas_f32 v7, v7, v8, v11
	v_div_fixup_f32 v5, v7, v6, v5
.LBB13_46:
	s_or_b64 exec, exec, s[12:13]
.LBB13_47:
	s_or_b64 exec, exec, s[10:11]
.LBB13_48:
	s_or_b64 exec, exec, s[8:9]
	v_mov_b32_e32 v6, s7
	v_add_co_u32_e32 v0, vcc, s6, v0
	v_addc_co_u32_e32 v1, vcc, v1, v6, vcc
	v_add_co_u32_e32 v0, vcc, v0, v10
	v_addc_co_u32_e32 v1, vcc, 0, v1, vcc
	flat_store_dwordx4 v[0:1], v[2:5]
	s_waitcnt vmcnt(0) lgkmcnt(0)
	s_setpc_b64 s[30:31]
.Lfunc_end13:
	.size	_ZN2at6native25elementwise_kernel_helperILb0EZZZNS0_12_GLOBAL__N_130modified_bessel_k0_kernel_cudaERNS_18TensorIteratorBaseEENKUlvE_clEvENKUlvE0_clEvEUlfE_NS0_6memory8policies10vectorizedILi4ESt5arrayIPcLm2EELi4EEEEEvT0_T1_, .Lfunc_end13-_ZN2at6native25elementwise_kernel_helperILb0EZZZNS0_12_GLOBAL__N_130modified_bessel_k0_kernel_cudaERNS_18TensorIteratorBaseEENKUlvE_clEvENKUlvE0_clEvEUlfE_NS0_6memory8policies10vectorizedILi4ESt5arrayIPcLm2EELi4EEEEEvT0_T1_
                                        ; -- End function
	.section	.AMDGPU.csdata,"",@progbits
; Function info:
; codeLenInByte = 12800
; NumSgprs: 36
; NumVgprs: 32
; NumAgprs: 0
; TotalNumVgprs: 32
; ScratchSize: 0
; MemoryBound: 0
	.section	.text._ZN2at6native29vectorized_elementwise_kernelILi16EZZZNS0_12_GLOBAL__N_130modified_bessel_k0_kernel_cudaERNS_18TensorIteratorBaseEENKUlvE_clEvENKUlvE0_clEvEUlfE_St5arrayIPcLm2EEEEviT0_T1_,"axG",@progbits,_ZN2at6native29vectorized_elementwise_kernelILi16EZZZNS0_12_GLOBAL__N_130modified_bessel_k0_kernel_cudaERNS_18TensorIteratorBaseEENKUlvE_clEvENKUlvE0_clEvEUlfE_St5arrayIPcLm2EEEEviT0_T1_,comdat
	.globl	_ZN2at6native29vectorized_elementwise_kernelILi16EZZZNS0_12_GLOBAL__N_130modified_bessel_k0_kernel_cudaERNS_18TensorIteratorBaseEENKUlvE_clEvENKUlvE0_clEvEUlfE_St5arrayIPcLm2EEEEviT0_T1_ ; -- Begin function _ZN2at6native29vectorized_elementwise_kernelILi16EZZZNS0_12_GLOBAL__N_130modified_bessel_k0_kernel_cudaERNS_18TensorIteratorBaseEENKUlvE_clEvENKUlvE0_clEvEUlfE_St5arrayIPcLm2EEEEviT0_T1_
	.p2align	8
	.type	_ZN2at6native29vectorized_elementwise_kernelILi16EZZZNS0_12_GLOBAL__N_130modified_bessel_k0_kernel_cudaERNS_18TensorIteratorBaseEENKUlvE_clEvENKUlvE0_clEvEUlfE_St5arrayIPcLm2EEEEviT0_T1_,@function
_ZN2at6native29vectorized_elementwise_kernelILi16EZZZNS0_12_GLOBAL__N_130modified_bessel_k0_kernel_cudaERNS_18TensorIteratorBaseEENKUlvE_clEvENKUlvE0_clEvEUlfE_St5arrayIPcLm2EEEEviT0_T1_: ; @_ZN2at6native29vectorized_elementwise_kernelILi16EZZZNS0_12_GLOBAL__N_130modified_bessel_k0_kernel_cudaERNS_18TensorIteratorBaseEENKUlvE_clEvENKUlvE0_clEvEUlfE_St5arrayIPcLm2EEEEviT0_T1_
; %bb.0:
	s_add_u32 flat_scratch_lo, s6, s9
	s_load_dword s6, s[4:5], 0x0
	s_load_dwordx4 s[20:23], s[4:5], 0x8
	s_addc_u32 flat_scratch_hi, s7, 0
	s_add_u32 s0, s0, s9
	s_addc_u32 s1, s1, 0
	s_lshl_b32 s4, s8, 10
	s_waitcnt lgkmcnt(0)
	s_sub_i32 s18, s6, s4
	s_mov_b32 s17, s8
	v_mov_b32_e32 v31, v0
	s_cmpk_gt_i32 s18, 0x3ff
	s_mov_b64 s[4:5], -1
	s_mov_b32 s32, 0
	s_cbranch_scc1 .LBB14_3
; %bb.1:
	s_andn2_b64 vcc, exec, s[4:5]
	s_cbranch_vccz .LBB14_4
.LBB14_2:
	s_endpgm
.LBB14_3:
	s_mov_b32 s12, s17
	v_mov_b32_e32 v0, s20
	v_mov_b32_e32 v1, s21
	;; [unrolled: 1-line block ×4, first 2 shown]
	s_getpc_b64 s[4:5]
	s_add_u32 s4, s4, _ZN2at6native25elementwise_kernel_helperILb0EZZZNS0_12_GLOBAL__N_130modified_bessel_k0_kernel_cudaERNS_18TensorIteratorBaseEENKUlvE_clEvENKUlvE0_clEvEUlfE_NS0_6memory8policies10vectorizedILi4ESt5arrayIPcLm2EELi4EEEEEvT0_T1_@rel32@lo+4
	s_addc_u32 s5, s5, _ZN2at6native25elementwise_kernel_helperILb0EZZZNS0_12_GLOBAL__N_130modified_bessel_k0_kernel_cudaERNS_18TensorIteratorBaseEENKUlvE_clEvENKUlvE0_clEvEUlfE_NS0_6memory8policies10vectorizedILi4ESt5arrayIPcLm2EELi4EEEEEvT0_T1_@rel32@hi+12
	s_swappc_b64 s[30:31], s[4:5]
	s_cbranch_execnz .LBB14_2
.LBB14_4:
	s_mov_b32 s12, s17
	v_mov_b32_e32 v0, s20
	v_mov_b32_e32 v1, s21
	;; [unrolled: 1-line block ×5, first 2 shown]
	s_getpc_b64 s[4:5]
	s_add_u32 s4, s4, _ZN2at6native25elementwise_kernel_helperILb0EZZZNS0_12_GLOBAL__N_130modified_bessel_k0_kernel_cudaERNS_18TensorIteratorBaseEENKUlvE_clEvENKUlvE0_clEvEUlfE_NS0_6memory8policies11unroll_baseILi256ESt5arrayIPcLm2EE23TrivialOffsetCalculatorILi1EjESF_NS8_15LoadWithoutCastENS8_16StoreWithoutCastELi4ELi1EEEEEvT0_T1_@rel32@lo+4
	s_addc_u32 s5, s5, _ZN2at6native25elementwise_kernel_helperILb0EZZZNS0_12_GLOBAL__N_130modified_bessel_k0_kernel_cudaERNS_18TensorIteratorBaseEENKUlvE_clEvENKUlvE0_clEvEUlfE_NS0_6memory8policies11unroll_baseILi256ESt5arrayIPcLm2EE23TrivialOffsetCalculatorILi1EjESF_NS8_15LoadWithoutCastENS8_16StoreWithoutCastELi4ELi1EEEEEvT0_T1_@rel32@hi+12
	s_swappc_b64 s[30:31], s[4:5]
	s_endpgm
	.section	.rodata,"a",@progbits
	.p2align	6, 0x0
	.amdhsa_kernel _ZN2at6native29vectorized_elementwise_kernelILi16EZZZNS0_12_GLOBAL__N_130modified_bessel_k0_kernel_cudaERNS_18TensorIteratorBaseEENKUlvE_clEvENKUlvE0_clEvEUlfE_St5arrayIPcLm2EEEEviT0_T1_
		.amdhsa_group_segment_fixed_size 0
		.amdhsa_private_segment_fixed_size 0
		.amdhsa_kernarg_size 24
		.amdhsa_user_sgpr_count 8
		.amdhsa_user_sgpr_private_segment_buffer 1
		.amdhsa_user_sgpr_dispatch_ptr 0
		.amdhsa_user_sgpr_queue_ptr 0
		.amdhsa_user_sgpr_kernarg_segment_ptr 1
		.amdhsa_user_sgpr_dispatch_id 0
		.amdhsa_user_sgpr_flat_scratch_init 1
		.amdhsa_user_sgpr_kernarg_preload_length 0
		.amdhsa_user_sgpr_kernarg_preload_offset 0
		.amdhsa_user_sgpr_private_segment_size 0
		.amdhsa_uses_dynamic_stack 0
		.amdhsa_system_sgpr_private_segment_wavefront_offset 0
		.amdhsa_system_sgpr_workgroup_id_x 1
		.amdhsa_system_sgpr_workgroup_id_y 0
		.amdhsa_system_sgpr_workgroup_id_z 0
		.amdhsa_system_sgpr_workgroup_info 0
		.amdhsa_system_vgpr_workitem_id 0
		.amdhsa_next_free_vgpr 32
		.amdhsa_next_free_sgpr 33
		.amdhsa_accum_offset 32
		.amdhsa_reserve_vcc 1
		.amdhsa_reserve_flat_scratch 1
		.amdhsa_float_round_mode_32 0
		.amdhsa_float_round_mode_16_64 0
		.amdhsa_float_denorm_mode_32 3
		.amdhsa_float_denorm_mode_16_64 3
		.amdhsa_dx10_clamp 1
		.amdhsa_ieee_mode 1
		.amdhsa_fp16_overflow 0
		.amdhsa_tg_split 0
		.amdhsa_exception_fp_ieee_invalid_op 0
		.amdhsa_exception_fp_denorm_src 0
		.amdhsa_exception_fp_ieee_div_zero 0
		.amdhsa_exception_fp_ieee_overflow 0
		.amdhsa_exception_fp_ieee_underflow 0
		.amdhsa_exception_fp_ieee_inexact 0
		.amdhsa_exception_int_div_zero 0
	.end_amdhsa_kernel
	.section	.text._ZN2at6native29vectorized_elementwise_kernelILi16EZZZNS0_12_GLOBAL__N_130modified_bessel_k0_kernel_cudaERNS_18TensorIteratorBaseEENKUlvE_clEvENKUlvE0_clEvEUlfE_St5arrayIPcLm2EEEEviT0_T1_,"axG",@progbits,_ZN2at6native29vectorized_elementwise_kernelILi16EZZZNS0_12_GLOBAL__N_130modified_bessel_k0_kernel_cudaERNS_18TensorIteratorBaseEENKUlvE_clEvENKUlvE0_clEvEUlfE_St5arrayIPcLm2EEEEviT0_T1_,comdat
.Lfunc_end14:
	.size	_ZN2at6native29vectorized_elementwise_kernelILi16EZZZNS0_12_GLOBAL__N_130modified_bessel_k0_kernel_cudaERNS_18TensorIteratorBaseEENKUlvE_clEvENKUlvE0_clEvEUlfE_St5arrayIPcLm2EEEEviT0_T1_, .Lfunc_end14-_ZN2at6native29vectorized_elementwise_kernelILi16EZZZNS0_12_GLOBAL__N_130modified_bessel_k0_kernel_cudaERNS_18TensorIteratorBaseEENKUlvE_clEvENKUlvE0_clEvEUlfE_St5arrayIPcLm2EEEEviT0_T1_
                                        ; -- End function
	.section	.AMDGPU.csdata,"",@progbits
; Kernel info:
; codeLenInByte = 180
; NumSgprs: 39
; NumVgprs: 32
; NumAgprs: 0
; TotalNumVgprs: 32
; ScratchSize: 0
; MemoryBound: 0
; FloatMode: 240
; IeeeMode: 1
; LDSByteSize: 0 bytes/workgroup (compile time only)
; SGPRBlocks: 4
; VGPRBlocks: 3
; NumSGPRsForWavesPerEU: 39
; NumVGPRsForWavesPerEU: 32
; AccumOffset: 32
; Occupancy: 8
; WaveLimiterHint : 0
; COMPUTE_PGM_RSRC2:SCRATCH_EN: 0
; COMPUTE_PGM_RSRC2:USER_SGPR: 8
; COMPUTE_PGM_RSRC2:TRAP_HANDLER: 0
; COMPUTE_PGM_RSRC2:TGID_X_EN: 1
; COMPUTE_PGM_RSRC2:TGID_Y_EN: 0
; COMPUTE_PGM_RSRC2:TGID_Z_EN: 0
; COMPUTE_PGM_RSRC2:TIDIG_COMP_CNT: 0
; COMPUTE_PGM_RSRC3_GFX90A:ACCUM_OFFSET: 7
; COMPUTE_PGM_RSRC3_GFX90A:TG_SPLIT: 0
	.section	.text._ZN2at6native29vectorized_elementwise_kernelILi8EZZZNS0_12_GLOBAL__N_130modified_bessel_k0_kernel_cudaERNS_18TensorIteratorBaseEENKUlvE_clEvENKUlvE0_clEvEUlfE_St5arrayIPcLm2EEEEviT0_T1_,"axG",@progbits,_ZN2at6native29vectorized_elementwise_kernelILi8EZZZNS0_12_GLOBAL__N_130modified_bessel_k0_kernel_cudaERNS_18TensorIteratorBaseEENKUlvE_clEvENKUlvE0_clEvEUlfE_St5arrayIPcLm2EEEEviT0_T1_,comdat
	.globl	_ZN2at6native29vectorized_elementwise_kernelILi8EZZZNS0_12_GLOBAL__N_130modified_bessel_k0_kernel_cudaERNS_18TensorIteratorBaseEENKUlvE_clEvENKUlvE0_clEvEUlfE_St5arrayIPcLm2EEEEviT0_T1_ ; -- Begin function _ZN2at6native29vectorized_elementwise_kernelILi8EZZZNS0_12_GLOBAL__N_130modified_bessel_k0_kernel_cudaERNS_18TensorIteratorBaseEENKUlvE_clEvENKUlvE0_clEvEUlfE_St5arrayIPcLm2EEEEviT0_T1_
	.p2align	8
	.type	_ZN2at6native29vectorized_elementwise_kernelILi8EZZZNS0_12_GLOBAL__N_130modified_bessel_k0_kernel_cudaERNS_18TensorIteratorBaseEENKUlvE_clEvENKUlvE0_clEvEUlfE_St5arrayIPcLm2EEEEviT0_T1_,@function
_ZN2at6native29vectorized_elementwise_kernelILi8EZZZNS0_12_GLOBAL__N_130modified_bessel_k0_kernel_cudaERNS_18TensorIteratorBaseEENKUlvE_clEvENKUlvE0_clEvEUlfE_St5arrayIPcLm2EEEEviT0_T1_: ; @_ZN2at6native29vectorized_elementwise_kernelILi8EZZZNS0_12_GLOBAL__N_130modified_bessel_k0_kernel_cudaERNS_18TensorIteratorBaseEENKUlvE_clEvENKUlvE0_clEvEUlfE_St5arrayIPcLm2EEEEviT0_T1_
; %bb.0:
	s_add_u32 flat_scratch_lo, s6, s9
	s_load_dword s6, s[4:5], 0x0
	s_load_dwordx4 s[20:23], s[4:5], 0x8
	s_addc_u32 flat_scratch_hi, s7, 0
	s_add_u32 s0, s0, s9
	s_addc_u32 s1, s1, 0
	s_lshl_b32 s4, s8, 10
	s_waitcnt lgkmcnt(0)
	s_sub_i32 s18, s6, s4
	s_mov_b32 s17, s8
	v_mov_b32_e32 v31, v0
	s_cmpk_gt_i32 s18, 0x3ff
	s_mov_b64 s[4:5], -1
	s_mov_b32 s32, 0
	s_cbranch_scc1 .LBB15_3
; %bb.1:
	s_andn2_b64 vcc, exec, s[4:5]
	s_cbranch_vccz .LBB15_4
.LBB15_2:
	s_endpgm
.LBB15_3:
	s_mov_b32 s12, s17
	v_mov_b32_e32 v0, s20
	v_mov_b32_e32 v1, s21
	;; [unrolled: 1-line block ×4, first 2 shown]
	s_getpc_b64 s[4:5]
	s_add_u32 s4, s4, _ZN2at6native25elementwise_kernel_helperILb0EZZZNS0_12_GLOBAL__N_130modified_bessel_k0_kernel_cudaERNS_18TensorIteratorBaseEENKUlvE_clEvENKUlvE0_clEvEUlfE_NS0_6memory8policies10vectorizedILi4ESt5arrayIPcLm2EELi4EEEEEvT0_T1_@rel32@lo+4
	s_addc_u32 s5, s5, _ZN2at6native25elementwise_kernel_helperILb0EZZZNS0_12_GLOBAL__N_130modified_bessel_k0_kernel_cudaERNS_18TensorIteratorBaseEENKUlvE_clEvENKUlvE0_clEvEUlfE_NS0_6memory8policies10vectorizedILi4ESt5arrayIPcLm2EELi4EEEEEvT0_T1_@rel32@hi+12
	s_swappc_b64 s[30:31], s[4:5]
	s_cbranch_execnz .LBB15_2
.LBB15_4:
	s_mov_b32 s12, s17
	v_mov_b32_e32 v0, s20
	v_mov_b32_e32 v1, s21
	;; [unrolled: 1-line block ×5, first 2 shown]
	s_getpc_b64 s[4:5]
	s_add_u32 s4, s4, _ZN2at6native25elementwise_kernel_helperILb0EZZZNS0_12_GLOBAL__N_130modified_bessel_k0_kernel_cudaERNS_18TensorIteratorBaseEENKUlvE_clEvENKUlvE0_clEvEUlfE_NS0_6memory8policies11unroll_baseILi256ESt5arrayIPcLm2EE23TrivialOffsetCalculatorILi1EjESF_NS8_15LoadWithoutCastENS8_16StoreWithoutCastELi4ELi1EEEEEvT0_T1_@rel32@lo+4
	s_addc_u32 s5, s5, _ZN2at6native25elementwise_kernel_helperILb0EZZZNS0_12_GLOBAL__N_130modified_bessel_k0_kernel_cudaERNS_18TensorIteratorBaseEENKUlvE_clEvENKUlvE0_clEvEUlfE_NS0_6memory8policies11unroll_baseILi256ESt5arrayIPcLm2EE23TrivialOffsetCalculatorILi1EjESF_NS8_15LoadWithoutCastENS8_16StoreWithoutCastELi4ELi1EEEEEvT0_T1_@rel32@hi+12
	s_swappc_b64 s[30:31], s[4:5]
	s_endpgm
	.section	.rodata,"a",@progbits
	.p2align	6, 0x0
	.amdhsa_kernel _ZN2at6native29vectorized_elementwise_kernelILi8EZZZNS0_12_GLOBAL__N_130modified_bessel_k0_kernel_cudaERNS_18TensorIteratorBaseEENKUlvE_clEvENKUlvE0_clEvEUlfE_St5arrayIPcLm2EEEEviT0_T1_
		.amdhsa_group_segment_fixed_size 0
		.amdhsa_private_segment_fixed_size 0
		.amdhsa_kernarg_size 24
		.amdhsa_user_sgpr_count 8
		.amdhsa_user_sgpr_private_segment_buffer 1
		.amdhsa_user_sgpr_dispatch_ptr 0
		.amdhsa_user_sgpr_queue_ptr 0
		.amdhsa_user_sgpr_kernarg_segment_ptr 1
		.amdhsa_user_sgpr_dispatch_id 0
		.amdhsa_user_sgpr_flat_scratch_init 1
		.amdhsa_user_sgpr_kernarg_preload_length 0
		.amdhsa_user_sgpr_kernarg_preload_offset 0
		.amdhsa_user_sgpr_private_segment_size 0
		.amdhsa_uses_dynamic_stack 0
		.amdhsa_system_sgpr_private_segment_wavefront_offset 0
		.amdhsa_system_sgpr_workgroup_id_x 1
		.amdhsa_system_sgpr_workgroup_id_y 0
		.amdhsa_system_sgpr_workgroup_id_z 0
		.amdhsa_system_sgpr_workgroup_info 0
		.amdhsa_system_vgpr_workitem_id 0
		.amdhsa_next_free_vgpr 32
		.amdhsa_next_free_sgpr 33
		.amdhsa_accum_offset 32
		.amdhsa_reserve_vcc 1
		.amdhsa_reserve_flat_scratch 1
		.amdhsa_float_round_mode_32 0
		.amdhsa_float_round_mode_16_64 0
		.amdhsa_float_denorm_mode_32 3
		.amdhsa_float_denorm_mode_16_64 3
		.amdhsa_dx10_clamp 1
		.amdhsa_ieee_mode 1
		.amdhsa_fp16_overflow 0
		.amdhsa_tg_split 0
		.amdhsa_exception_fp_ieee_invalid_op 0
		.amdhsa_exception_fp_denorm_src 0
		.amdhsa_exception_fp_ieee_div_zero 0
		.amdhsa_exception_fp_ieee_overflow 0
		.amdhsa_exception_fp_ieee_underflow 0
		.amdhsa_exception_fp_ieee_inexact 0
		.amdhsa_exception_int_div_zero 0
	.end_amdhsa_kernel
	.section	.text._ZN2at6native29vectorized_elementwise_kernelILi8EZZZNS0_12_GLOBAL__N_130modified_bessel_k0_kernel_cudaERNS_18TensorIteratorBaseEENKUlvE_clEvENKUlvE0_clEvEUlfE_St5arrayIPcLm2EEEEviT0_T1_,"axG",@progbits,_ZN2at6native29vectorized_elementwise_kernelILi8EZZZNS0_12_GLOBAL__N_130modified_bessel_k0_kernel_cudaERNS_18TensorIteratorBaseEENKUlvE_clEvENKUlvE0_clEvEUlfE_St5arrayIPcLm2EEEEviT0_T1_,comdat
.Lfunc_end15:
	.size	_ZN2at6native29vectorized_elementwise_kernelILi8EZZZNS0_12_GLOBAL__N_130modified_bessel_k0_kernel_cudaERNS_18TensorIteratorBaseEENKUlvE_clEvENKUlvE0_clEvEUlfE_St5arrayIPcLm2EEEEviT0_T1_, .Lfunc_end15-_ZN2at6native29vectorized_elementwise_kernelILi8EZZZNS0_12_GLOBAL__N_130modified_bessel_k0_kernel_cudaERNS_18TensorIteratorBaseEENKUlvE_clEvENKUlvE0_clEvEUlfE_St5arrayIPcLm2EEEEviT0_T1_
                                        ; -- End function
	.section	.AMDGPU.csdata,"",@progbits
; Kernel info:
; codeLenInByte = 180
; NumSgprs: 39
; NumVgprs: 32
; NumAgprs: 0
; TotalNumVgprs: 32
; ScratchSize: 0
; MemoryBound: 0
; FloatMode: 240
; IeeeMode: 1
; LDSByteSize: 0 bytes/workgroup (compile time only)
; SGPRBlocks: 4
; VGPRBlocks: 3
; NumSGPRsForWavesPerEU: 39
; NumVGPRsForWavesPerEU: 32
; AccumOffset: 32
; Occupancy: 8
; WaveLimiterHint : 0
; COMPUTE_PGM_RSRC2:SCRATCH_EN: 0
; COMPUTE_PGM_RSRC2:USER_SGPR: 8
; COMPUTE_PGM_RSRC2:TRAP_HANDLER: 0
; COMPUTE_PGM_RSRC2:TGID_X_EN: 1
; COMPUTE_PGM_RSRC2:TGID_Y_EN: 0
; COMPUTE_PGM_RSRC2:TGID_Z_EN: 0
; COMPUTE_PGM_RSRC2:TIDIG_COMP_CNT: 0
; COMPUTE_PGM_RSRC3_GFX90A:ACCUM_OFFSET: 7
; COMPUTE_PGM_RSRC3_GFX90A:TG_SPLIT: 0
	.section	.text._ZN2at6native29vectorized_elementwise_kernelILi4EZZZNS0_12_GLOBAL__N_130modified_bessel_k0_kernel_cudaERNS_18TensorIteratorBaseEENKUlvE_clEvENKUlvE0_clEvEUlfE_St5arrayIPcLm2EEEEviT0_T1_,"axG",@progbits,_ZN2at6native29vectorized_elementwise_kernelILi4EZZZNS0_12_GLOBAL__N_130modified_bessel_k0_kernel_cudaERNS_18TensorIteratorBaseEENKUlvE_clEvENKUlvE0_clEvEUlfE_St5arrayIPcLm2EEEEviT0_T1_,comdat
	.globl	_ZN2at6native29vectorized_elementwise_kernelILi4EZZZNS0_12_GLOBAL__N_130modified_bessel_k0_kernel_cudaERNS_18TensorIteratorBaseEENKUlvE_clEvENKUlvE0_clEvEUlfE_St5arrayIPcLm2EEEEviT0_T1_ ; -- Begin function _ZN2at6native29vectorized_elementwise_kernelILi4EZZZNS0_12_GLOBAL__N_130modified_bessel_k0_kernel_cudaERNS_18TensorIteratorBaseEENKUlvE_clEvENKUlvE0_clEvEUlfE_St5arrayIPcLm2EEEEviT0_T1_
	.p2align	8
	.type	_ZN2at6native29vectorized_elementwise_kernelILi4EZZZNS0_12_GLOBAL__N_130modified_bessel_k0_kernel_cudaERNS_18TensorIteratorBaseEENKUlvE_clEvENKUlvE0_clEvEUlfE_St5arrayIPcLm2EEEEviT0_T1_,@function
_ZN2at6native29vectorized_elementwise_kernelILi4EZZZNS0_12_GLOBAL__N_130modified_bessel_k0_kernel_cudaERNS_18TensorIteratorBaseEENKUlvE_clEvENKUlvE0_clEvEUlfE_St5arrayIPcLm2EEEEviT0_T1_: ; @_ZN2at6native29vectorized_elementwise_kernelILi4EZZZNS0_12_GLOBAL__N_130modified_bessel_k0_kernel_cudaERNS_18TensorIteratorBaseEENKUlvE_clEvENKUlvE0_clEvEUlfE_St5arrayIPcLm2EEEEviT0_T1_
; %bb.0:
	s_add_u32 flat_scratch_lo, s6, s9
	s_load_dword s6, s[4:5], 0x0
	s_load_dwordx4 s[20:23], s[4:5], 0x8
	s_addc_u32 flat_scratch_hi, s7, 0
	s_add_u32 s0, s0, s9
	s_addc_u32 s1, s1, 0
	s_lshl_b32 s4, s8, 10
	s_waitcnt lgkmcnt(0)
	s_sub_i32 s18, s6, s4
	s_mov_b32 s17, s8
	v_mov_b32_e32 v31, v0
	s_cmpk_gt_i32 s18, 0x3ff
	s_mov_b64 s[4:5], -1
	s_mov_b32 s32, 0
	s_cbranch_scc1 .LBB16_3
; %bb.1:
	s_andn2_b64 vcc, exec, s[4:5]
	s_cbranch_vccz .LBB16_4
.LBB16_2:
	s_endpgm
.LBB16_3:
	s_mov_b32 s12, s17
	v_mov_b32_e32 v0, s20
	v_mov_b32_e32 v1, s21
	;; [unrolled: 1-line block ×4, first 2 shown]
	s_getpc_b64 s[4:5]
	s_add_u32 s4, s4, _ZN2at6native25elementwise_kernel_helperILb0EZZZNS0_12_GLOBAL__N_130modified_bessel_k0_kernel_cudaERNS_18TensorIteratorBaseEENKUlvE_clEvENKUlvE0_clEvEUlfE_NS0_6memory8policies10vectorizedILi4ESt5arrayIPcLm2EELi4EEEEEvT0_T1_@rel32@lo+4
	s_addc_u32 s5, s5, _ZN2at6native25elementwise_kernel_helperILb0EZZZNS0_12_GLOBAL__N_130modified_bessel_k0_kernel_cudaERNS_18TensorIteratorBaseEENKUlvE_clEvENKUlvE0_clEvEUlfE_NS0_6memory8policies10vectorizedILi4ESt5arrayIPcLm2EELi4EEEEEvT0_T1_@rel32@hi+12
	s_swappc_b64 s[30:31], s[4:5]
	s_cbranch_execnz .LBB16_2
.LBB16_4:
	s_mov_b32 s12, s17
	v_mov_b32_e32 v0, s20
	v_mov_b32_e32 v1, s21
	;; [unrolled: 1-line block ×5, first 2 shown]
	s_getpc_b64 s[4:5]
	s_add_u32 s4, s4, _ZN2at6native25elementwise_kernel_helperILb0EZZZNS0_12_GLOBAL__N_130modified_bessel_k0_kernel_cudaERNS_18TensorIteratorBaseEENKUlvE_clEvENKUlvE0_clEvEUlfE_NS0_6memory8policies11unroll_baseILi256ESt5arrayIPcLm2EE23TrivialOffsetCalculatorILi1EjESF_NS8_15LoadWithoutCastENS8_16StoreWithoutCastELi4ELi1EEEEEvT0_T1_@rel32@lo+4
	s_addc_u32 s5, s5, _ZN2at6native25elementwise_kernel_helperILb0EZZZNS0_12_GLOBAL__N_130modified_bessel_k0_kernel_cudaERNS_18TensorIteratorBaseEENKUlvE_clEvENKUlvE0_clEvEUlfE_NS0_6memory8policies11unroll_baseILi256ESt5arrayIPcLm2EE23TrivialOffsetCalculatorILi1EjESF_NS8_15LoadWithoutCastENS8_16StoreWithoutCastELi4ELi1EEEEEvT0_T1_@rel32@hi+12
	s_swappc_b64 s[30:31], s[4:5]
	s_endpgm
	.section	.rodata,"a",@progbits
	.p2align	6, 0x0
	.amdhsa_kernel _ZN2at6native29vectorized_elementwise_kernelILi4EZZZNS0_12_GLOBAL__N_130modified_bessel_k0_kernel_cudaERNS_18TensorIteratorBaseEENKUlvE_clEvENKUlvE0_clEvEUlfE_St5arrayIPcLm2EEEEviT0_T1_
		.amdhsa_group_segment_fixed_size 0
		.amdhsa_private_segment_fixed_size 0
		.amdhsa_kernarg_size 24
		.amdhsa_user_sgpr_count 8
		.amdhsa_user_sgpr_private_segment_buffer 1
		.amdhsa_user_sgpr_dispatch_ptr 0
		.amdhsa_user_sgpr_queue_ptr 0
		.amdhsa_user_sgpr_kernarg_segment_ptr 1
		.amdhsa_user_sgpr_dispatch_id 0
		.amdhsa_user_sgpr_flat_scratch_init 1
		.amdhsa_user_sgpr_kernarg_preload_length 0
		.amdhsa_user_sgpr_kernarg_preload_offset 0
		.amdhsa_user_sgpr_private_segment_size 0
		.amdhsa_uses_dynamic_stack 0
		.amdhsa_system_sgpr_private_segment_wavefront_offset 0
		.amdhsa_system_sgpr_workgroup_id_x 1
		.amdhsa_system_sgpr_workgroup_id_y 0
		.amdhsa_system_sgpr_workgroup_id_z 0
		.amdhsa_system_sgpr_workgroup_info 0
		.amdhsa_system_vgpr_workitem_id 0
		.amdhsa_next_free_vgpr 32
		.amdhsa_next_free_sgpr 33
		.amdhsa_accum_offset 32
		.amdhsa_reserve_vcc 1
		.amdhsa_reserve_flat_scratch 1
		.amdhsa_float_round_mode_32 0
		.amdhsa_float_round_mode_16_64 0
		.amdhsa_float_denorm_mode_32 3
		.amdhsa_float_denorm_mode_16_64 3
		.amdhsa_dx10_clamp 1
		.amdhsa_ieee_mode 1
		.amdhsa_fp16_overflow 0
		.amdhsa_tg_split 0
		.amdhsa_exception_fp_ieee_invalid_op 0
		.amdhsa_exception_fp_denorm_src 0
		.amdhsa_exception_fp_ieee_div_zero 0
		.amdhsa_exception_fp_ieee_overflow 0
		.amdhsa_exception_fp_ieee_underflow 0
		.amdhsa_exception_fp_ieee_inexact 0
		.amdhsa_exception_int_div_zero 0
	.end_amdhsa_kernel
	.section	.text._ZN2at6native29vectorized_elementwise_kernelILi4EZZZNS0_12_GLOBAL__N_130modified_bessel_k0_kernel_cudaERNS_18TensorIteratorBaseEENKUlvE_clEvENKUlvE0_clEvEUlfE_St5arrayIPcLm2EEEEviT0_T1_,"axG",@progbits,_ZN2at6native29vectorized_elementwise_kernelILi4EZZZNS0_12_GLOBAL__N_130modified_bessel_k0_kernel_cudaERNS_18TensorIteratorBaseEENKUlvE_clEvENKUlvE0_clEvEUlfE_St5arrayIPcLm2EEEEviT0_T1_,comdat
.Lfunc_end16:
	.size	_ZN2at6native29vectorized_elementwise_kernelILi4EZZZNS0_12_GLOBAL__N_130modified_bessel_k0_kernel_cudaERNS_18TensorIteratorBaseEENKUlvE_clEvENKUlvE0_clEvEUlfE_St5arrayIPcLm2EEEEviT0_T1_, .Lfunc_end16-_ZN2at6native29vectorized_elementwise_kernelILi4EZZZNS0_12_GLOBAL__N_130modified_bessel_k0_kernel_cudaERNS_18TensorIteratorBaseEENKUlvE_clEvENKUlvE0_clEvEUlfE_St5arrayIPcLm2EEEEviT0_T1_
                                        ; -- End function
	.section	.AMDGPU.csdata,"",@progbits
; Kernel info:
; codeLenInByte = 180
; NumSgprs: 39
; NumVgprs: 32
; NumAgprs: 0
; TotalNumVgprs: 32
; ScratchSize: 0
; MemoryBound: 0
; FloatMode: 240
; IeeeMode: 1
; LDSByteSize: 0 bytes/workgroup (compile time only)
; SGPRBlocks: 4
; VGPRBlocks: 3
; NumSGPRsForWavesPerEU: 39
; NumVGPRsForWavesPerEU: 32
; AccumOffset: 32
; Occupancy: 8
; WaveLimiterHint : 0
; COMPUTE_PGM_RSRC2:SCRATCH_EN: 0
; COMPUTE_PGM_RSRC2:USER_SGPR: 8
; COMPUTE_PGM_RSRC2:TRAP_HANDLER: 0
; COMPUTE_PGM_RSRC2:TGID_X_EN: 1
; COMPUTE_PGM_RSRC2:TGID_Y_EN: 0
; COMPUTE_PGM_RSRC2:TGID_Z_EN: 0
; COMPUTE_PGM_RSRC2:TIDIG_COMP_CNT: 0
; COMPUTE_PGM_RSRC3_GFX90A:ACCUM_OFFSET: 7
; COMPUTE_PGM_RSRC3_GFX90A:TG_SPLIT: 0
	.section	.text._ZN2at6native29vectorized_elementwise_kernelILi2EZZZNS0_12_GLOBAL__N_130modified_bessel_k0_kernel_cudaERNS_18TensorIteratorBaseEENKUlvE_clEvENKUlvE0_clEvEUlfE_St5arrayIPcLm2EEEEviT0_T1_,"axG",@progbits,_ZN2at6native29vectorized_elementwise_kernelILi2EZZZNS0_12_GLOBAL__N_130modified_bessel_k0_kernel_cudaERNS_18TensorIteratorBaseEENKUlvE_clEvENKUlvE0_clEvEUlfE_St5arrayIPcLm2EEEEviT0_T1_,comdat
	.globl	_ZN2at6native29vectorized_elementwise_kernelILi2EZZZNS0_12_GLOBAL__N_130modified_bessel_k0_kernel_cudaERNS_18TensorIteratorBaseEENKUlvE_clEvENKUlvE0_clEvEUlfE_St5arrayIPcLm2EEEEviT0_T1_ ; -- Begin function _ZN2at6native29vectorized_elementwise_kernelILi2EZZZNS0_12_GLOBAL__N_130modified_bessel_k0_kernel_cudaERNS_18TensorIteratorBaseEENKUlvE_clEvENKUlvE0_clEvEUlfE_St5arrayIPcLm2EEEEviT0_T1_
	.p2align	8
	.type	_ZN2at6native29vectorized_elementwise_kernelILi2EZZZNS0_12_GLOBAL__N_130modified_bessel_k0_kernel_cudaERNS_18TensorIteratorBaseEENKUlvE_clEvENKUlvE0_clEvEUlfE_St5arrayIPcLm2EEEEviT0_T1_,@function
_ZN2at6native29vectorized_elementwise_kernelILi2EZZZNS0_12_GLOBAL__N_130modified_bessel_k0_kernel_cudaERNS_18TensorIteratorBaseEENKUlvE_clEvENKUlvE0_clEvEUlfE_St5arrayIPcLm2EEEEviT0_T1_: ; @_ZN2at6native29vectorized_elementwise_kernelILi2EZZZNS0_12_GLOBAL__N_130modified_bessel_k0_kernel_cudaERNS_18TensorIteratorBaseEENKUlvE_clEvENKUlvE0_clEvEUlfE_St5arrayIPcLm2EEEEviT0_T1_
; %bb.0:
	s_add_u32 flat_scratch_lo, s6, s9
	s_load_dword s6, s[4:5], 0x0
	s_load_dwordx4 s[16:19], s[4:5], 0x8
	s_addc_u32 flat_scratch_hi, s7, 0
	s_add_u32 s0, s0, s9
	s_addc_u32 s1, s1, 0
	s_lshl_b32 s4, s8, 10
	s_waitcnt lgkmcnt(0)
	s_sub_i32 s9, s6, s4
	s_cmpk_gt_i32 s9, 0x3ff
	s_mov_b64 s[6:7], -1
	s_mov_b32 s32, 0
	s_cbranch_scc1 .LBB17_3
; %bb.1:
	s_and_b64 vcc, exec, s[6:7]
	s_cbranch_vccnz .LBB17_52
.LBB17_2:
	s_endpgm
.LBB17_3:
	s_ashr_i32 s5, s4, 31
	s_lshl_b64 s[6:7], s[4:5], 2
	s_add_u32 s4, s18, s6
	s_addc_u32 s5, s19, s7
	v_lshlrev_b32_e32 v1, 3, v0
	global_load_dwordx2 v[6:7], v1, s[4:5]
	global_load_dwordx2 v[4:5], v1, s[4:5] offset:2048
	v_mov_b32_e32 v3, 0x7f800000
	v_mov_b32_e32 v2, 0x7f800000
	s_waitcnt vmcnt(1)
	v_cmp_neq_f32_e32 vcc, 0, v6
	s_and_saveexec_b64 s[10:11], vcc
	s_cbranch_execz .LBB17_15
; %bb.4:
	v_cmp_ngt_f32_e32 vcc, 0, v6
	v_mov_b32_e32 v2, 0x7fc00000
	s_and_saveexec_b64 s[12:13], vcc
	s_cbranch_execz .LBB17_14
; %bb.5:
	v_cmp_ge_f32_e32 vcc, 2.0, v6
	s_and_saveexec_b64 s[4:5], vcc
	s_xor_b64 s[14:15], exec, s[4:5]
	s_cbranch_execz .LBB17_11
; %bb.6:
	s_mov_b32 s4, 0x41000000
	v_cmp_ge_f32_e32 vcc, s4, v6
                                        ; implicit-def: $vgpr2
	s_and_saveexec_b64 s[4:5], vcc
	s_xor_b64 s[4:5], exec, s[4:5]
	s_cbranch_execz .LBB17_8
; %bb.7:
	v_fma_f32 v2, v6, 0.5, -2.0
	v_mov_b32_e32 v8, 0x24199b15
	v_fmac_f32_e32 v8, 0xa2a2e5b9, v2
	v_mov_b32_e32 v9, 0x22a2e5b9
	v_fmac_f32_e32 v9, v2, v8
	v_add_f32_e32 v9, 0xa58c275c, v9
	v_fma_f32 v8, v2, v9, -v8
	v_add_f32_e32 v8, 0x26f736c5, v8
	v_fma_f32 v9, v2, v8, -v9
	;; [unrolled: 2-line block ×23, first 2 shown]
	v_mul_f32_e32 v10, 0x3fb8aa3b, v6
	v_add_f32_e32 v8, 0x3d49f456, v8
	s_mov_b32 s20, 0x3fb8aa3b
	v_rndne_f32_e32 v11, v10
	v_fma_f32 v9, v2, v8, -v9
	v_sub_f32_e32 v12, v10, v11
	v_fma_f32 v10, v6, s20, -v10
	v_add_f32_e32 v9, 0xbdc25b82, v9
	v_fmac_f32_e32 v10, 0x32a5705f, v6
	v_fma_f32 v8, v2, v9, -v8
	v_add_f32_e32 v10, v12, v10
	v_add_f32_e32 v8, 0x3e2fbd64, v8
	v_exp_f32_e32 v10, v10
	v_cvt_i32_f32_e32 v11, v11
	v_fma_f32 v9, v2, v8, -v9
	v_add_f32_e32 v9, 0xbe9bff5e, v9
	v_fma_f32 v2, v2, v9, -v8
	s_mov_b32 s20, 0xc2ce8ed0
	v_add_f32_e32 v2, 0x3f2d4275, v2
	v_ldexp_f32 v9, v10, v11
	v_cmp_ngt_f32_e32 vcc, s20, v6
	s_mov_b32 s20, 0x42b17218
	v_cndmask_b32_e32 v9, 0, v9, vcc
	v_mov_b32_e32 v10, 0x7f800000
	v_cmp_nlt_f32_e32 vcc, s20, v6
	v_sub_f32_e32 v2, v2, v8
	v_cndmask_b32_e32 v9, v10, v9, vcc
	v_mul_f32_e32 v2, 0.5, v2
	v_mul_f32_e32 v2, v9, v2
.LBB17_8:
	s_andn2_saveexec_b64 s[20:21], s[4:5]
	s_cbranch_execz .LBB17_10
; %bb.9:
	s_mov_b32 s22, 0x42000000
	v_div_scale_f32 v2, s[4:5], v6, v6, s22
	v_rcp_f32_e32 v8, v2
	v_div_scale_f32 v9, vcc, s22, v6, s22
	s_mov_b32 s4, 0x3fb8aa3b
	v_fma_f32 v10, -v2, v8, 1.0
	v_fmac_f32_e32 v8, v10, v8
	v_mul_f32_e32 v10, v9, v8
	v_fma_f32 v11, -v2, v10, v9
	v_fmac_f32_e32 v10, v11, v8
	v_fma_f32 v2, -v2, v10, v9
	v_div_fmas_f32 v2, v2, v8, v10
	v_div_fixup_f32 v2, v2, v6, s22
	v_add_f32_e32 v2, -2.0, v2
	v_mov_b32_e32 v8, 0xa2b236d3
	v_fmac_f32_e32 v8, 0xa3056dbb, v2
	v_mov_b32_e32 v9, 0x23056dbb
	v_fmac_f32_e32 v9, v2, v8
	v_add_f32_e32 v9, 0x244df0c1, v9
	v_fma_f32 v8, v2, v9, -v8
	v_add_f32_e32 v8, 0x241f9ee8, v8
	v_fma_f32 v9, v2, v8, -v9
	;; [unrolled: 2-line block ×17, first 2 shown]
	v_add_f32_e32 v8, 0x32c2b494, v8
	v_mul_f32_e32 v10, 0x3fb8aa3b, v6
	v_fma_f32 v9, v2, v8, -v9
	v_rndne_f32_e32 v11, v10
	v_add_f32_e32 v9, 0x345c003f, v9
	v_sub_f32_e32 v12, v10, v11
	v_fma_f32 v10, v6, s4, -v10
	v_fma_f32 v8, v2, v9, -v8
	v_fmac_f32_e32 v10, 0x32a5705f, v6
	v_add_f32_e32 v8, 0x3642095e, v8
	v_add_f32_e32 v10, v12, v10
	v_fma_f32 v9, v2, v8, -v9
	v_exp_f32_e32 v10, v10
	v_cvt_i32_f32_e32 v11, v11
	v_add_f32_e32 v9, 0x38907d1c, v9
	v_fma_f32 v8, v2, v9, -v8
	v_add_f32_e32 v8, 0x3b5ccc65, v8
	s_mov_b32 s4, 0xc2ce8ed0
	v_fma_f32 v2, v2, v8, -v9
	v_ldexp_f32 v8, v10, v11
	v_cmp_ngt_f32_e32 vcc, s4, v6
	s_mov_b32 s4, 0x42b17218
	v_cndmask_b32_e32 v8, 0, v8, vcc
	v_mov_b32_e32 v10, 0x7f800000
	v_cmp_nlt_f32_e32 vcc, s4, v6
	s_mov_b32 s4, 0xf800000
	v_cndmask_b32_e32 v8, v10, v8, vcc
	v_mul_f32_e32 v10, 0x4f800000, v6
	v_cmp_gt_f32_e32 vcc, s4, v6
	v_cndmask_b32_e32 v10, v6, v10, vcc
	v_sqrt_f32_e32 v11, v10
	v_add_f32_e32 v2, 0x3f4df315, v2
	v_sub_f32_e32 v2, v2, v9
	v_mul_f32_e32 v2, 0.5, v2
	v_mul_f32_e32 v2, v8, v2
	v_add_u32_e32 v8, -1, v11
	v_fma_f32 v9, -v8, v11, v10
	v_cmp_ge_f32_e64 s[4:5], 0, v9
	v_add_u32_e32 v9, 1, v11
	v_cndmask_b32_e64 v8, v11, v8, s[4:5]
	v_fma_f32 v11, -v9, v11, v10
	v_cmp_lt_f32_e64 s[4:5], 0, v11
	v_cndmask_b32_e64 v8, v8, v9, s[4:5]
	v_mul_f32_e32 v9, 0x37800000, v8
	v_cndmask_b32_e32 v8, v8, v9, vcc
	v_mov_b32_e32 v9, 0x260
	v_cmp_class_f32_e32 vcc, v10, v9
	v_cndmask_b32_e32 v8, v8, v10, vcc
	v_div_scale_f32 v9, s[4:5], v8, v8, v2
	v_rcp_f32_e32 v10, v9
	v_fma_f32 v11, -v9, v10, 1.0
	v_fmac_f32_e32 v10, v11, v10
	v_div_scale_f32 v11, vcc, v2, v8, v2
	v_mul_f32_e32 v12, v11, v10
	v_fma_f32 v13, -v9, v12, v11
	v_fmac_f32_e32 v12, v13, v10
	v_fma_f32 v9, -v9, v12, v11
	v_div_fmas_f32 v9, v9, v10, v12
	v_div_fixup_f32 v2, v9, v8, v2
.LBB17_10:
	s_or_b64 exec, exec, s[20:21]
	v_fma_f32 v8, v6, v6, -2.0
	v_mov_b32_e32 v9, 0x293fd856
	v_fmac_f32_e32 v9, 0x251e770f, v8
	v_mov_b32_e32 v10, 0xa51e770f
	v_fmac_f32_e32 v10, v8, v9
	v_add_f32_e32 v10, 0x2d3612e2, v10
	v_fma_f32 v9, v8, v10, -v9
	v_add_f32_e32 v9, 0x3102e09b, v9
	v_fma_f32 v10, v8, v9, -v10
	;; [unrolled: 2-line block ×7, first 2 shown]
	v_cvt_f64_f32_e32 v[10:11], v6
	v_mul_f64 v[10:11], v[10:11], 0.5
	s_mov_b32 s4, 0x55555555
	v_frexp_mant_f64_e32 v[12:13], v[10:11]
	s_mov_b32 s5, 0x3fe55555
	v_mov_b32_e32 v14, 0x3ff00000
	v_cmp_gt_f64_e32 vcc, s[4:5], v[12:13]
	v_cndmask_b32_e64 v15, v14, 2.0, vcc
	v_mov_b32_e32 v14, 0
	v_mul_f64 v[12:13], v[12:13], v[14:15]
	v_frexp_exp_i32_f64_e32 v16, v[10:11]
	v_add_f64 v[14:15], v[12:13], 1.0
	v_subbrev_co_u32_e32 v26, vcc, 0, v16, vcc
	v_rcp_f64_e32 v[16:17], v[14:15]
	v_add_f64 v[20:21], v[14:15], -1.0
	v_add_f64 v[18:19], v[12:13], -1.0
	v_add_f64 v[12:13], v[12:13], -v[20:21]
	v_fma_f64 v[20:21], -v[14:15], v[16:17], 1.0
	v_fmac_f64_e32 v[16:17], v[20:21], v[16:17]
	v_fma_f64 v[20:21], -v[14:15], v[16:17], 1.0
	v_fmac_f64_e32 v[16:17], v[20:21], v[16:17]
	v_mul_f64 v[20:21], v[18:19], v[16:17]
	v_mul_f64 v[22:23], v[14:15], v[20:21]
	v_fma_f64 v[14:15], v[20:21], v[14:15], -v[22:23]
	v_fmac_f64_e32 v[14:15], v[20:21], v[12:13]
	v_add_f64 v[12:13], v[22:23], v[14:15]
	v_add_f64 v[24:25], v[18:19], -v[12:13]
	v_add_f64 v[22:23], v[12:13], -v[22:23]
	;; [unrolled: 1-line block ×5, first 2 shown]
	v_add_f64 v[12:13], v[14:15], v[12:13]
	v_add_f64 v[12:13], v[24:25], v[12:13]
	v_mul_f64 v[12:13], v[16:17], v[12:13]
	v_add_f64 v[14:15], v[20:21], v[12:13]
	v_add_f64 v[16:17], v[14:15], -v[20:21]
	s_mov_b32 s4, 0xbf559e2b
	v_add_f64 v[12:13], v[12:13], -v[16:17]
	v_mul_f64 v[16:17], v[14:15], v[14:15]
	v_mov_b32_e32 v18, 0x6b47b09a
	v_mov_b32_e32 v19, 0x3fc38538
	s_mov_b32 s5, 0x3fc3ab76
	v_fmac_f64_e32 v[18:19], s[4:5], v[16:17]
	v_mov_b32_e32 v20, 0xd7f4df2e
	v_mov_b32_e32 v21, 0x3fc7474d
	v_fmac_f64_e32 v[20:21], v[16:17], v[18:19]
	v_mov_b32_e32 v18, 0x16291751
	v_mov_b32_e32 v19, 0x3fcc71c0
	;; [unrolled: 3-line block ×5, first 2 shown]
	v_fmac_f64_e32 v[20:21], v[16:17], v[18:19]
	v_ldexp_f64 v[18:19], v[14:15], 1
	v_mul_f64 v[14:15], v[14:15], v[16:17]
	v_mul_f64 v[14:15], v[14:15], v[20:21]
	v_add_f64 v[16:17], v[18:19], v[14:15]
	v_add_f64 v[18:19], v[16:17], -v[18:19]
	v_ldexp_f64 v[12:13], v[12:13], 1
	v_add_f64 v[14:15], v[14:15], -v[18:19]
	v_add_f64 v[12:13], v[12:13], v[14:15]
	v_add_f64 v[14:15], v[16:17], v[12:13]
	v_add_f64 v[16:17], v[14:15], -v[16:17]
	s_mov_b32 s4, 0xfefa39ef
	v_add_f64 v[12:13], v[12:13], -v[16:17]
	v_cvt_f64_i32_e32 v[16:17], v26
	s_mov_b32 s5, 0x3fe62e42
	v_mul_f64 v[18:19], v[16:17], s[4:5]
	v_fma_f64 v[20:21], v[16:17], s[4:5], -v[18:19]
	s_mov_b32 s4, 0x3b39803f
	s_mov_b32 s5, 0x3c7abc9e
	v_fmac_f64_e32 v[20:21], s[4:5], v[16:17]
	v_add_f64 v[16:17], v[18:19], v[20:21]
	v_add_f64 v[18:19], v[16:17], -v[18:19]
	v_add_f64 v[18:19], v[20:21], -v[18:19]
	v_add_f64 v[20:21], v[16:17], v[14:15]
	v_add_f64 v[22:23], v[20:21], -v[16:17]
	v_add_f64 v[24:25], v[20:21], -v[22:23]
	;; [unrolled: 1-line block ×4, first 2 shown]
	v_add_f64 v[14:15], v[14:15], v[16:17]
	v_add_f64 v[16:17], v[18:19], v[12:13]
	v_add_f64 v[22:23], v[16:17], -v[18:19]
	v_add_f64 v[24:25], v[16:17], -v[22:23]
	v_add_f64 v[14:15], v[16:17], v[14:15]
	v_add_f64 v[18:19], v[18:19], -v[24:25]
	v_add_f64 v[12:13], v[12:13], -v[22:23]
	v_add_f64 v[16:17], v[20:21], v[14:15]
	v_add_f64 v[12:13], v[12:13], v[18:19]
	v_add_f64 v[18:19], v[16:17], -v[20:21]
	v_add_f64 v[14:15], v[14:15], -v[18:19]
	s_mov_b32 s4, 0
	v_add_f32_e32 v8, 0xbf090b37, v8
	v_add_f64 v[12:13], v[12:13], v[14:15]
	s_mov_b32 s5, 0x7ff00000
	v_sub_f32_e32 v8, v8, v9
	v_add_f64 v[12:13], v[16:17], v[12:13]
	v_cmp_eq_f64_e32 vcc, s[4:5], v[10:11]
	v_mul_f32_e32 v8, 0.5, v8
	v_cndmask_b32_e32 v12, v12, v10, vcc
	v_cndmask_b32_e32 v13, v13, v11, vcc
	v_mov_b32_e32 v14, 0xfff00000
	v_cmp_neq_f64_e32 vcc, 0, v[10:11]
	v_cvt_f64_f32_e32 v[8:9], v8
	v_cndmask_b32_e32 v11, v14, v13, vcc
	v_cndmask_b32_e32 v10, 0, v12, vcc
	v_cvt_f64_f32_e32 v[12:13], v2
	v_fma_f64 v[8:9], -v[10:11], v[12:13], v[8:9]
	v_cvt_f32_f64_e32 v2, v[8:9]
.LBB17_11:
	s_andn2_saveexec_b64 s[14:15], s[14:15]
	s_cbranch_execz .LBB17_13
; %bb.12:
	s_mov_b32 s20, 0x41000000
	v_div_scale_f32 v2, s[4:5], v6, v6, s20
	v_rcp_f32_e32 v8, v2
	v_div_scale_f32 v9, vcc, s20, v6, s20
	s_mov_b32 s4, 0xbfb8aa3b
	v_fma_f32 v10, -v2, v8, 1.0
	v_fmac_f32_e32 v8, v10, v8
	v_mul_f32_e32 v10, v9, v8
	v_fma_f32 v11, -v2, v10, v9
	v_fmac_f32_e32 v10, v11, v8
	v_fma_f32 v2, -v2, v10, v9
	v_div_fmas_f32 v2, v2, v8, v10
	v_div_fixup_f32 v2, v2, v6, s20
	v_add_f32_e32 v2, -2.0, v2
	v_mov_b32_e32 v8, 0xa397f665
	v_fmac_f32_e32 v8, 0x22c38d2e, v2
	v_mov_b32_e32 v9, 0xa2c38d2e
	v_fmac_f32_e32 v9, v2, v8
	v_add_f32_e32 v9, 0x24704972, v9
	v_fma_f32 v8, v2, v9, -v8
	v_add_f32_e32 v8, 0xa5417ca4, v8
	v_fma_f32 v9, v2, v8, -v9
	;; [unrolled: 2-line block ×17, first 2 shown]
	v_add_f32_e32 v8, 0xb5f5daa4, v8
	v_mul_f32_e32 v10, 0xbfb8aa3b, v6
	v_fma_f32 v9, v2, v8, -v9
	v_rndne_f32_e32 v11, v10
	v_add_f32_e32 v9, 0x376a09fe, v9
	v_sub_f32_e32 v12, v10, v11
	v_fma_f32 v10, v6, s4, -v10
	v_fma_f32 v8, v2, v9, -v8
	v_fmac_f32_e32 v10, 0xb2a5705f, v6
	v_add_f32_e32 v8, 0xb906bcbf, v8
	v_add_f32_e32 v10, v12, v10
	v_fma_f32 v9, v2, v8, -v9
	v_exp_f32_e32 v10, v10
	v_cvt_i32_f32_e32 v11, v11
	v_add_f32_e32 v9, 0x3acdc490, v9
	v_fma_f32 v8, v2, v9, -v8
	v_add_f32_e32 v8, 0xbd00cfb9, v8
	s_mov_b32 s4, 0x42ce8ed0
	v_fma_f32 v2, v2, v8, -v9
	v_ldexp_f32 v8, v10, v11
	v_cmp_nlt_f32_e32 vcc, s4, v6
	s_mov_b32 s4, 0xc2b17218
	v_cndmask_b32_e32 v8, 0, v8, vcc
	v_mov_b32_e32 v10, 0x7f800000
	v_cmp_ngt_f32_e32 vcc, s4, v6
	s_mov_b32 s4, 0xf800000
	v_cndmask_b32_e32 v8, v10, v8, vcc
	v_mul_f32_e32 v10, 0x4f800000, v6
	v_cmp_gt_f32_e32 vcc, s4, v6
	v_cndmask_b32_e32 v6, v6, v10, vcc
	v_sqrt_f32_e32 v10, v6
	v_add_f32_e32 v2, 0x401c2ded, v2
	v_sub_f32_e32 v2, v2, v9
	v_mul_f32_e32 v2, 0.5, v2
	v_mul_f32_e32 v2, v8, v2
	v_add_u32_e32 v8, -1, v10
	v_fma_f32 v9, -v8, v10, v6
	v_cmp_ge_f32_e64 s[4:5], 0, v9
	v_add_u32_e32 v9, 1, v10
	v_cndmask_b32_e64 v8, v10, v8, s[4:5]
	v_fma_f32 v10, -v9, v10, v6
	v_cmp_lt_f32_e64 s[4:5], 0, v10
	v_cndmask_b32_e64 v8, v8, v9, s[4:5]
	v_mul_f32_e32 v9, 0x37800000, v8
	v_cndmask_b32_e32 v8, v8, v9, vcc
	v_mov_b32_e32 v9, 0x260
	v_cmp_class_f32_e32 vcc, v6, v9
	v_cndmask_b32_e32 v6, v8, v6, vcc
	v_div_scale_f32 v8, s[4:5], v6, v6, v2
	v_rcp_f32_e32 v9, v8
	v_fma_f32 v10, -v8, v9, 1.0
	v_fmac_f32_e32 v9, v10, v9
	v_div_scale_f32 v10, vcc, v2, v6, v2
	v_mul_f32_e32 v11, v10, v9
	v_fma_f32 v12, -v8, v11, v10
	v_fmac_f32_e32 v11, v12, v9
	v_fma_f32 v8, -v8, v11, v10
	v_div_fmas_f32 v8, v8, v9, v11
	v_div_fixup_f32 v2, v8, v6, v2
.LBB17_13:
	s_or_b64 exec, exec, s[14:15]
.LBB17_14:
	s_or_b64 exec, exec, s[12:13]
.LBB17_15:
	s_or_b64 exec, exec, s[10:11]
	v_cmp_neq_f32_e32 vcc, 0, v7
	s_and_saveexec_b64 s[10:11], vcc
	s_cbranch_execz .LBB17_27
; %bb.16:
	v_cmp_ngt_f32_e32 vcc, 0, v7
	v_mov_b32_e32 v3, 0x7fc00000
	s_and_saveexec_b64 s[12:13], vcc
	s_cbranch_execz .LBB17_26
; %bb.17:
	v_cmp_ge_f32_e32 vcc, 2.0, v7
	s_and_saveexec_b64 s[4:5], vcc
	s_xor_b64 s[14:15], exec, s[4:5]
	s_cbranch_execz .LBB17_23
; %bb.18:
	s_mov_b32 s4, 0x41000000
	v_cmp_ge_f32_e32 vcc, s4, v7
                                        ; implicit-def: $vgpr3
	s_and_saveexec_b64 s[4:5], vcc
	s_xor_b64 s[4:5], exec, s[4:5]
	s_cbranch_execz .LBB17_20
; %bb.19:
	v_fma_f32 v3, v7, 0.5, -2.0
	v_mov_b32_e32 v6, 0x24199b15
	v_fmac_f32_e32 v6, 0xa2a2e5b9, v3
	v_mov_b32_e32 v8, 0x22a2e5b9
	v_fmac_f32_e32 v8, v3, v6
	v_add_f32_e32 v8, 0xa58c275c, v8
	v_fma_f32 v6, v3, v8, -v6
	v_add_f32_e32 v6, 0x26f736c5, v6
	v_fma_f32 v8, v3, v6, -v8
	;; [unrolled: 2-line block ×23, first 2 shown]
	v_mul_f32_e32 v9, 0x3fb8aa3b, v7
	v_add_f32_e32 v6, 0x3d49f456, v6
	s_mov_b32 s20, 0x3fb8aa3b
	v_rndne_f32_e32 v10, v9
	v_fma_f32 v8, v3, v6, -v8
	v_sub_f32_e32 v11, v9, v10
	v_fma_f32 v9, v7, s20, -v9
	v_add_f32_e32 v8, 0xbdc25b82, v8
	v_fmac_f32_e32 v9, 0x32a5705f, v7
	v_fma_f32 v6, v3, v8, -v6
	v_add_f32_e32 v9, v11, v9
	v_add_f32_e32 v6, 0x3e2fbd64, v6
	v_exp_f32_e32 v9, v9
	v_cvt_i32_f32_e32 v10, v10
	v_fma_f32 v8, v3, v6, -v8
	v_add_f32_e32 v8, 0xbe9bff5e, v8
	v_fma_f32 v3, v3, v8, -v6
	s_mov_b32 s20, 0xc2ce8ed0
	v_add_f32_e32 v3, 0x3f2d4275, v3
	v_ldexp_f32 v8, v9, v10
	v_cmp_ngt_f32_e32 vcc, s20, v7
	s_mov_b32 s20, 0x42b17218
	v_cndmask_b32_e32 v8, 0, v8, vcc
	v_mov_b32_e32 v9, 0x7f800000
	v_cmp_nlt_f32_e32 vcc, s20, v7
	v_sub_f32_e32 v3, v3, v6
	v_cndmask_b32_e32 v8, v9, v8, vcc
	v_mul_f32_e32 v3, 0.5, v3
	v_mul_f32_e32 v3, v8, v3
.LBB17_20:
	s_andn2_saveexec_b64 s[20:21], s[4:5]
	s_cbranch_execz .LBB17_22
; %bb.21:
	s_mov_b32 s22, 0x42000000
	v_div_scale_f32 v3, s[4:5], v7, v7, s22
	v_rcp_f32_e32 v6, v3
	v_div_scale_f32 v8, vcc, s22, v7, s22
	s_mov_b32 s4, 0x3fb8aa3b
	v_fma_f32 v9, -v3, v6, 1.0
	v_fmac_f32_e32 v6, v9, v6
	v_mul_f32_e32 v9, v8, v6
	v_fma_f32 v10, -v3, v9, v8
	v_fmac_f32_e32 v9, v10, v6
	v_fma_f32 v3, -v3, v9, v8
	v_div_fmas_f32 v3, v3, v6, v9
	v_div_fixup_f32 v3, v3, v7, s22
	v_add_f32_e32 v3, -2.0, v3
	v_mov_b32_e32 v6, 0xa2b236d3
	v_fmac_f32_e32 v6, 0xa3056dbb, v3
	v_mov_b32_e32 v8, 0x23056dbb
	v_fmac_f32_e32 v8, v3, v6
	v_add_f32_e32 v8, 0x244df0c1, v8
	v_fma_f32 v6, v3, v8, -v6
	v_add_f32_e32 v6, 0x241f9ee8, v6
	v_fma_f32 v8, v3, v6, -v8
	;; [unrolled: 2-line block ×17, first 2 shown]
	v_add_f32_e32 v6, 0x32c2b494, v6
	v_mul_f32_e32 v9, 0x3fb8aa3b, v7
	v_fma_f32 v8, v3, v6, -v8
	v_rndne_f32_e32 v10, v9
	v_add_f32_e32 v8, 0x345c003f, v8
	v_sub_f32_e32 v11, v9, v10
	v_fma_f32 v9, v7, s4, -v9
	v_fma_f32 v6, v3, v8, -v6
	v_fmac_f32_e32 v9, 0x32a5705f, v7
	v_add_f32_e32 v6, 0x3642095e, v6
	v_add_f32_e32 v9, v11, v9
	v_fma_f32 v8, v3, v6, -v8
	v_exp_f32_e32 v9, v9
	v_cvt_i32_f32_e32 v10, v10
	v_add_f32_e32 v8, 0x38907d1c, v8
	v_fma_f32 v6, v3, v8, -v6
	v_add_f32_e32 v6, 0x3b5ccc65, v6
	s_mov_b32 s4, 0xc2ce8ed0
	v_fma_f32 v3, v3, v6, -v8
	v_ldexp_f32 v6, v9, v10
	v_cmp_ngt_f32_e32 vcc, s4, v7
	s_mov_b32 s4, 0x42b17218
	v_cndmask_b32_e32 v6, 0, v6, vcc
	v_mov_b32_e32 v9, 0x7f800000
	v_cmp_nlt_f32_e32 vcc, s4, v7
	s_mov_b32 s4, 0xf800000
	v_cndmask_b32_e32 v6, v9, v6, vcc
	v_mul_f32_e32 v9, 0x4f800000, v7
	v_cmp_gt_f32_e32 vcc, s4, v7
	v_cndmask_b32_e32 v9, v7, v9, vcc
	v_sqrt_f32_e32 v10, v9
	v_add_f32_e32 v3, 0x3f4df315, v3
	v_sub_f32_e32 v3, v3, v8
	v_mul_f32_e32 v3, 0.5, v3
	v_mul_f32_e32 v3, v6, v3
	v_add_u32_e32 v6, -1, v10
	v_fma_f32 v8, -v6, v10, v9
	v_cmp_ge_f32_e64 s[4:5], 0, v8
	v_add_u32_e32 v8, 1, v10
	v_cndmask_b32_e64 v6, v10, v6, s[4:5]
	v_fma_f32 v10, -v8, v10, v9
	v_cmp_lt_f32_e64 s[4:5], 0, v10
	v_cndmask_b32_e64 v6, v6, v8, s[4:5]
	v_mul_f32_e32 v8, 0x37800000, v6
	v_cndmask_b32_e32 v6, v6, v8, vcc
	v_mov_b32_e32 v8, 0x260
	v_cmp_class_f32_e32 vcc, v9, v8
	v_cndmask_b32_e32 v6, v6, v9, vcc
	v_div_scale_f32 v8, s[4:5], v6, v6, v3
	v_rcp_f32_e32 v9, v8
	v_fma_f32 v10, -v8, v9, 1.0
	v_fmac_f32_e32 v9, v10, v9
	v_div_scale_f32 v10, vcc, v3, v6, v3
	v_mul_f32_e32 v11, v10, v9
	v_fma_f32 v12, -v8, v11, v10
	v_fmac_f32_e32 v11, v12, v9
	v_fma_f32 v8, -v8, v11, v10
	v_div_fmas_f32 v8, v8, v9, v11
	v_div_fixup_f32 v3, v8, v6, v3
.LBB17_22:
	s_or_b64 exec, exec, s[20:21]
	v_fma_f32 v6, v7, v7, -2.0
	v_mov_b32_e32 v8, 0x293fd856
	v_fmac_f32_e32 v8, 0x251e770f, v6
	v_mov_b32_e32 v9, 0xa51e770f
	v_fmac_f32_e32 v9, v6, v8
	v_add_f32_e32 v9, 0x2d3612e2, v9
	v_fma_f32 v8, v6, v9, -v8
	v_add_f32_e32 v8, 0x3102e09b, v8
	v_fma_f32 v9, v6, v8, -v9
	;; [unrolled: 2-line block ×7, first 2 shown]
	v_add_f32_e32 v6, 0xbf090b37, v6
	v_sub_f32_e32 v6, v6, v8
	v_mul_f32_e32 v6, 0.5, v6
	v_cvt_f64_f32_e32 v[8:9], v6
	v_cvt_f64_f32_e32 v[6:7], v7
	v_mul_f64 v[6:7], v[6:7], 0.5
	s_mov_b32 s4, 0x55555555
	v_frexp_mant_f64_e32 v[10:11], v[6:7]
	s_mov_b32 s5, 0x3fe55555
	v_mov_b32_e32 v12, 0x3ff00000
	v_cmp_gt_f64_e32 vcc, s[4:5], v[10:11]
	v_cndmask_b32_e64 v13, v12, 2.0, vcc
	v_mov_b32_e32 v12, 0
	v_mul_f64 v[10:11], v[10:11], v[12:13]
	v_frexp_exp_i32_f64_e32 v14, v[6:7]
	v_add_f64 v[12:13], v[10:11], 1.0
	v_subbrev_co_u32_e32 v24, vcc, 0, v14, vcc
	v_rcp_f64_e32 v[14:15], v[12:13]
	v_add_f64 v[18:19], v[12:13], -1.0
	v_add_f64 v[16:17], v[10:11], -1.0
	v_add_f64 v[10:11], v[10:11], -v[18:19]
	v_fma_f64 v[18:19], -v[12:13], v[14:15], 1.0
	v_fmac_f64_e32 v[14:15], v[18:19], v[14:15]
	v_fma_f64 v[18:19], -v[12:13], v[14:15], 1.0
	v_fmac_f64_e32 v[14:15], v[18:19], v[14:15]
	v_mul_f64 v[18:19], v[16:17], v[14:15]
	v_mul_f64 v[20:21], v[12:13], v[18:19]
	v_fma_f64 v[12:13], v[18:19], v[12:13], -v[20:21]
	v_fmac_f64_e32 v[12:13], v[18:19], v[10:11]
	v_add_f64 v[10:11], v[20:21], v[12:13]
	v_add_f64 v[22:23], v[16:17], -v[10:11]
	v_add_f64 v[20:21], v[10:11], -v[20:21]
	;; [unrolled: 1-line block ×5, first 2 shown]
	v_add_f64 v[10:11], v[12:13], v[10:11]
	v_add_f64 v[10:11], v[22:23], v[10:11]
	v_mul_f64 v[10:11], v[14:15], v[10:11]
	v_add_f64 v[12:13], v[18:19], v[10:11]
	v_add_f64 v[14:15], v[12:13], -v[18:19]
	s_mov_b32 s4, 0xbf559e2b
	v_add_f64 v[10:11], v[10:11], -v[14:15]
	v_mul_f64 v[14:15], v[12:13], v[12:13]
	v_mov_b32_e32 v16, 0x6b47b09a
	v_mov_b32_e32 v17, 0x3fc38538
	s_mov_b32 s5, 0x3fc3ab76
	v_fmac_f64_e32 v[16:17], s[4:5], v[14:15]
	v_mov_b32_e32 v18, 0xd7f4df2e
	v_mov_b32_e32 v19, 0x3fc7474d
	v_fmac_f64_e32 v[18:19], v[14:15], v[16:17]
	v_mov_b32_e32 v16, 0x16291751
	v_mov_b32_e32 v17, 0x3fcc71c0
	;; [unrolled: 3-line block ×5, first 2 shown]
	v_fmac_f64_e32 v[18:19], v[14:15], v[16:17]
	v_ldexp_f64 v[16:17], v[12:13], 1
	v_mul_f64 v[12:13], v[12:13], v[14:15]
	v_mul_f64 v[12:13], v[12:13], v[18:19]
	v_add_f64 v[14:15], v[16:17], v[12:13]
	v_add_f64 v[16:17], v[14:15], -v[16:17]
	v_ldexp_f64 v[10:11], v[10:11], 1
	v_add_f64 v[12:13], v[12:13], -v[16:17]
	v_add_f64 v[10:11], v[10:11], v[12:13]
	v_add_f64 v[12:13], v[14:15], v[10:11]
	v_add_f64 v[14:15], v[12:13], -v[14:15]
	s_mov_b32 s4, 0xfefa39ef
	v_add_f64 v[10:11], v[10:11], -v[14:15]
	v_cvt_f64_i32_e32 v[14:15], v24
	s_mov_b32 s5, 0x3fe62e42
	v_mul_f64 v[16:17], v[14:15], s[4:5]
	v_fma_f64 v[18:19], v[14:15], s[4:5], -v[16:17]
	s_mov_b32 s4, 0x3b39803f
	s_mov_b32 s5, 0x3c7abc9e
	v_fmac_f64_e32 v[18:19], s[4:5], v[14:15]
	v_add_f64 v[14:15], v[16:17], v[18:19]
	v_add_f64 v[16:17], v[14:15], -v[16:17]
	v_add_f64 v[16:17], v[18:19], -v[16:17]
	v_add_f64 v[18:19], v[14:15], v[12:13]
	v_add_f64 v[20:21], v[18:19], -v[14:15]
	v_add_f64 v[22:23], v[18:19], -v[20:21]
	;; [unrolled: 1-line block ×4, first 2 shown]
	v_add_f64 v[12:13], v[12:13], v[14:15]
	v_add_f64 v[14:15], v[16:17], v[10:11]
	v_add_f64 v[20:21], v[14:15], -v[16:17]
	v_add_f64 v[22:23], v[14:15], -v[20:21]
	v_add_f64 v[12:13], v[14:15], v[12:13]
	v_add_f64 v[16:17], v[16:17], -v[22:23]
	v_add_f64 v[10:11], v[10:11], -v[20:21]
	v_add_f64 v[14:15], v[18:19], v[12:13]
	v_add_f64 v[10:11], v[10:11], v[16:17]
	v_add_f64 v[16:17], v[14:15], -v[18:19]
	v_add_f64 v[12:13], v[12:13], -v[16:17]
	s_mov_b32 s4, 0
	v_add_f64 v[10:11], v[10:11], v[12:13]
	s_mov_b32 s5, 0x7ff00000
	v_add_f64 v[10:11], v[14:15], v[10:11]
	v_cmp_eq_f64_e32 vcc, s[4:5], v[6:7]
	v_cndmask_b32_e32 v10, v10, v6, vcc
	v_cndmask_b32_e32 v11, v11, v7, vcc
	v_mov_b32_e32 v12, 0xfff00000
	v_cmp_neq_f64_e32 vcc, 0, v[6:7]
	v_cndmask_b32_e32 v7, v12, v11, vcc
	v_cndmask_b32_e32 v6, 0, v10, vcc
	v_cvt_f64_f32_e32 v[10:11], v3
	v_fma_f64 v[6:7], -v[6:7], v[10:11], v[8:9]
	v_cvt_f32_f64_e32 v3, v[6:7]
                                        ; implicit-def: $vgpr6_vgpr7
.LBB17_23:
	s_andn2_saveexec_b64 s[14:15], s[14:15]
	s_cbranch_execz .LBB17_25
; %bb.24:
	s_mov_b32 s20, 0x41000000
	v_div_scale_f32 v3, s[4:5], v7, v7, s20
	v_rcp_f32_e32 v6, v3
	v_div_scale_f32 v8, vcc, s20, v7, s20
	s_mov_b32 s4, 0xbfb8aa3b
	v_fma_f32 v9, -v3, v6, 1.0
	v_fmac_f32_e32 v6, v9, v6
	v_mul_f32_e32 v9, v8, v6
	v_fma_f32 v10, -v3, v9, v8
	v_fmac_f32_e32 v9, v10, v6
	v_fma_f32 v3, -v3, v9, v8
	v_div_fmas_f32 v3, v3, v6, v9
	v_div_fixup_f32 v3, v3, v7, s20
	v_add_f32_e32 v3, -2.0, v3
	v_mov_b32_e32 v6, 0xa397f665
	v_fmac_f32_e32 v6, 0x22c38d2e, v3
	v_mov_b32_e32 v8, 0xa2c38d2e
	v_fmac_f32_e32 v8, v3, v6
	v_add_f32_e32 v8, 0x24704972, v8
	v_fma_f32 v6, v3, v8, -v6
	v_add_f32_e32 v6, 0xa5417ca4, v6
	v_fma_f32 v8, v3, v6, -v8
	;; [unrolled: 2-line block ×17, first 2 shown]
	v_add_f32_e32 v6, 0xb5f5daa4, v6
	v_mul_f32_e32 v9, 0xbfb8aa3b, v7
	v_fma_f32 v8, v3, v6, -v8
	v_rndne_f32_e32 v10, v9
	v_add_f32_e32 v8, 0x376a09fe, v8
	v_sub_f32_e32 v11, v9, v10
	v_fma_f32 v9, v7, s4, -v9
	v_fma_f32 v6, v3, v8, -v6
	v_fmac_f32_e32 v9, 0xb2a5705f, v7
	v_add_f32_e32 v6, 0xb906bcbf, v6
	v_add_f32_e32 v9, v11, v9
	v_fma_f32 v8, v3, v6, -v8
	v_exp_f32_e32 v9, v9
	v_cvt_i32_f32_e32 v10, v10
	v_add_f32_e32 v8, 0x3acdc490, v8
	v_fma_f32 v6, v3, v8, -v6
	v_add_f32_e32 v6, 0xbd00cfb9, v6
	s_mov_b32 s4, 0x42ce8ed0
	v_fma_f32 v3, v3, v6, -v8
	v_ldexp_f32 v6, v9, v10
	v_cmp_nlt_f32_e32 vcc, s4, v7
	s_mov_b32 s4, 0xc2b17218
	v_cndmask_b32_e32 v6, 0, v6, vcc
	v_mov_b32_e32 v9, 0x7f800000
	v_cmp_ngt_f32_e32 vcc, s4, v7
	s_mov_b32 s4, 0xf800000
	v_cndmask_b32_e32 v6, v9, v6, vcc
	v_mul_f32_e32 v9, 0x4f800000, v7
	v_cmp_gt_f32_e32 vcc, s4, v7
	v_cndmask_b32_e32 v7, v7, v9, vcc
	v_sqrt_f32_e32 v9, v7
	v_add_f32_e32 v3, 0x401c2ded, v3
	v_sub_f32_e32 v3, v3, v8
	v_mul_f32_e32 v3, 0.5, v3
	v_mul_f32_e32 v3, v6, v3
	v_add_u32_e32 v6, -1, v9
	v_fma_f32 v8, -v6, v9, v7
	v_cmp_ge_f32_e64 s[4:5], 0, v8
	v_add_u32_e32 v8, 1, v9
	v_cndmask_b32_e64 v6, v9, v6, s[4:5]
	v_fma_f32 v9, -v8, v9, v7
	v_cmp_lt_f32_e64 s[4:5], 0, v9
	v_cndmask_b32_e64 v6, v6, v8, s[4:5]
	v_mul_f32_e32 v8, 0x37800000, v6
	v_cndmask_b32_e32 v6, v6, v8, vcc
	v_mov_b32_e32 v8, 0x260
	v_cmp_class_f32_e32 vcc, v7, v8
	v_cndmask_b32_e32 v6, v6, v7, vcc
	v_div_scale_f32 v7, s[4:5], v6, v6, v3
	v_rcp_f32_e32 v8, v7
	v_fma_f32 v9, -v7, v8, 1.0
	v_fmac_f32_e32 v8, v9, v8
	v_div_scale_f32 v9, vcc, v3, v6, v3
	v_mul_f32_e32 v10, v9, v8
	v_fma_f32 v11, -v7, v10, v9
	v_fmac_f32_e32 v10, v11, v8
	v_fma_f32 v7, -v7, v10, v9
	v_div_fmas_f32 v7, v7, v8, v10
	v_div_fixup_f32 v3, v7, v6, v3
.LBB17_25:
	s_or_b64 exec, exec, s[14:15]
.LBB17_26:
	s_or_b64 exec, exec, s[12:13]
.LBB17_27:
	s_or_b64 exec, exec, s[10:11]
	s_waitcnt vmcnt(0)
	v_cmp_neq_f32_e32 vcc, 0, v4
	v_mov_b32_e32 v7, 0x7f800000
	v_mov_b32_e32 v6, 0x7f800000
	s_and_saveexec_b64 s[10:11], vcc
	s_cbranch_execz .LBB17_39
; %bb.28:
	v_cmp_ngt_f32_e32 vcc, 0, v4
	v_mov_b32_e32 v6, 0x7fc00000
	s_and_saveexec_b64 s[12:13], vcc
	s_cbranch_execz .LBB17_38
; %bb.29:
	v_cmp_ge_f32_e32 vcc, 2.0, v4
	s_and_saveexec_b64 s[4:5], vcc
	s_xor_b64 s[14:15], exec, s[4:5]
	s_cbranch_execz .LBB17_35
; %bb.30:
	s_mov_b32 s4, 0x41000000
	v_cmp_ge_f32_e32 vcc, s4, v4
                                        ; implicit-def: $vgpr6
	s_and_saveexec_b64 s[4:5], vcc
	s_xor_b64 s[4:5], exec, s[4:5]
	s_cbranch_execz .LBB17_32
; %bb.31:
	v_fma_f32 v6, v4, 0.5, -2.0
	v_mov_b32_e32 v8, 0x24199b15
	v_fmac_f32_e32 v8, 0xa2a2e5b9, v6
	v_mov_b32_e32 v9, 0x22a2e5b9
	v_fmac_f32_e32 v9, v6, v8
	v_add_f32_e32 v9, 0xa58c275c, v9
	v_fma_f32 v8, v6, v9, -v8
	v_add_f32_e32 v8, 0x26f736c5, v8
	v_fma_f32 v9, v6, v8, -v9
	;; [unrolled: 2-line block ×23, first 2 shown]
	v_mul_f32_e32 v10, 0x3fb8aa3b, v4
	v_add_f32_e32 v8, 0x3d49f456, v8
	s_mov_b32 s20, 0x3fb8aa3b
	v_rndne_f32_e32 v11, v10
	v_fma_f32 v9, v6, v8, -v9
	v_sub_f32_e32 v12, v10, v11
	v_fma_f32 v10, v4, s20, -v10
	v_add_f32_e32 v9, 0xbdc25b82, v9
	v_fmac_f32_e32 v10, 0x32a5705f, v4
	v_fma_f32 v8, v6, v9, -v8
	v_add_f32_e32 v10, v12, v10
	v_add_f32_e32 v8, 0x3e2fbd64, v8
	v_exp_f32_e32 v10, v10
	v_cvt_i32_f32_e32 v11, v11
	v_fma_f32 v9, v6, v8, -v9
	v_add_f32_e32 v9, 0xbe9bff5e, v9
	v_fma_f32 v6, v6, v9, -v8
	s_mov_b32 s20, 0xc2ce8ed0
	v_add_f32_e32 v6, 0x3f2d4275, v6
	v_ldexp_f32 v9, v10, v11
	v_cmp_ngt_f32_e32 vcc, s20, v4
	s_mov_b32 s20, 0x42b17218
	v_cndmask_b32_e32 v9, 0, v9, vcc
	v_mov_b32_e32 v10, 0x7f800000
	v_cmp_nlt_f32_e32 vcc, s20, v4
	v_sub_f32_e32 v6, v6, v8
	v_cndmask_b32_e32 v9, v10, v9, vcc
	v_mul_f32_e32 v6, 0.5, v6
	v_mul_f32_e32 v6, v9, v6
.LBB17_32:
	s_andn2_saveexec_b64 s[20:21], s[4:5]
	s_cbranch_execz .LBB17_34
; %bb.33:
	s_mov_b32 s22, 0x42000000
	v_div_scale_f32 v6, s[4:5], v4, v4, s22
	v_rcp_f32_e32 v8, v6
	v_div_scale_f32 v9, vcc, s22, v4, s22
	s_mov_b32 s4, 0x3fb8aa3b
	v_fma_f32 v10, -v6, v8, 1.0
	v_fmac_f32_e32 v8, v10, v8
	v_mul_f32_e32 v10, v9, v8
	v_fma_f32 v11, -v6, v10, v9
	v_fmac_f32_e32 v10, v11, v8
	v_fma_f32 v6, -v6, v10, v9
	v_div_fmas_f32 v6, v6, v8, v10
	v_div_fixup_f32 v6, v6, v4, s22
	v_add_f32_e32 v6, -2.0, v6
	v_mov_b32_e32 v8, 0xa2b236d3
	v_fmac_f32_e32 v8, 0xa3056dbb, v6
	v_mov_b32_e32 v9, 0x23056dbb
	v_fmac_f32_e32 v9, v6, v8
	v_add_f32_e32 v9, 0x244df0c1, v9
	v_fma_f32 v8, v6, v9, -v8
	v_add_f32_e32 v8, 0x241f9ee8, v8
	v_fma_f32 v9, v6, v8, -v9
	;; [unrolled: 2-line block ×17, first 2 shown]
	v_add_f32_e32 v8, 0x32c2b494, v8
	v_mul_f32_e32 v10, 0x3fb8aa3b, v4
	v_fma_f32 v9, v6, v8, -v9
	v_rndne_f32_e32 v11, v10
	v_add_f32_e32 v9, 0x345c003f, v9
	v_sub_f32_e32 v12, v10, v11
	v_fma_f32 v10, v4, s4, -v10
	v_fma_f32 v8, v6, v9, -v8
	v_fmac_f32_e32 v10, 0x32a5705f, v4
	v_add_f32_e32 v8, 0x3642095e, v8
	v_add_f32_e32 v10, v12, v10
	v_fma_f32 v9, v6, v8, -v9
	v_exp_f32_e32 v10, v10
	v_cvt_i32_f32_e32 v11, v11
	v_add_f32_e32 v9, 0x38907d1c, v9
	v_fma_f32 v8, v6, v9, -v8
	v_add_f32_e32 v8, 0x3b5ccc65, v8
	s_mov_b32 s4, 0xc2ce8ed0
	v_fma_f32 v6, v6, v8, -v9
	v_ldexp_f32 v8, v10, v11
	v_cmp_ngt_f32_e32 vcc, s4, v4
	s_mov_b32 s4, 0x42b17218
	v_cndmask_b32_e32 v8, 0, v8, vcc
	v_mov_b32_e32 v10, 0x7f800000
	v_cmp_nlt_f32_e32 vcc, s4, v4
	s_mov_b32 s4, 0xf800000
	v_cndmask_b32_e32 v8, v10, v8, vcc
	v_mul_f32_e32 v10, 0x4f800000, v4
	v_cmp_gt_f32_e32 vcc, s4, v4
	v_cndmask_b32_e32 v10, v4, v10, vcc
	v_sqrt_f32_e32 v11, v10
	v_add_f32_e32 v6, 0x3f4df315, v6
	v_sub_f32_e32 v6, v6, v9
	v_mul_f32_e32 v6, 0.5, v6
	v_mul_f32_e32 v6, v8, v6
	v_add_u32_e32 v8, -1, v11
	v_fma_f32 v9, -v8, v11, v10
	v_cmp_ge_f32_e64 s[4:5], 0, v9
	v_add_u32_e32 v9, 1, v11
	v_cndmask_b32_e64 v8, v11, v8, s[4:5]
	v_fma_f32 v11, -v9, v11, v10
	v_cmp_lt_f32_e64 s[4:5], 0, v11
	v_cndmask_b32_e64 v8, v8, v9, s[4:5]
	v_mul_f32_e32 v9, 0x37800000, v8
	v_cndmask_b32_e32 v8, v8, v9, vcc
	v_mov_b32_e32 v9, 0x260
	v_cmp_class_f32_e32 vcc, v10, v9
	v_cndmask_b32_e32 v8, v8, v10, vcc
	v_div_scale_f32 v9, s[4:5], v8, v8, v6
	v_rcp_f32_e32 v10, v9
	v_fma_f32 v11, -v9, v10, 1.0
	v_fmac_f32_e32 v10, v11, v10
	v_div_scale_f32 v11, vcc, v6, v8, v6
	v_mul_f32_e32 v12, v11, v10
	v_fma_f32 v13, -v9, v12, v11
	v_fmac_f32_e32 v12, v13, v10
	v_fma_f32 v9, -v9, v12, v11
	v_div_fmas_f32 v9, v9, v10, v12
	v_div_fixup_f32 v6, v9, v8, v6
.LBB17_34:
	s_or_b64 exec, exec, s[20:21]
	v_fma_f32 v8, v4, v4, -2.0
	v_mov_b32_e32 v9, 0x293fd856
	v_fmac_f32_e32 v9, 0x251e770f, v8
	v_mov_b32_e32 v10, 0xa51e770f
	v_fmac_f32_e32 v10, v8, v9
	v_add_f32_e32 v10, 0x2d3612e2, v10
	v_fma_f32 v9, v8, v10, -v9
	v_add_f32_e32 v9, 0x3102e09b, v9
	v_fma_f32 v10, v8, v9, -v10
	;; [unrolled: 2-line block ×7, first 2 shown]
	v_cvt_f64_f32_e32 v[10:11], v4
	v_mul_f64 v[10:11], v[10:11], 0.5
	s_mov_b32 s4, 0x55555555
	v_frexp_mant_f64_e32 v[12:13], v[10:11]
	s_mov_b32 s5, 0x3fe55555
	v_mov_b32_e32 v14, 0x3ff00000
	v_cmp_gt_f64_e32 vcc, s[4:5], v[12:13]
	v_cndmask_b32_e64 v15, v14, 2.0, vcc
	v_mov_b32_e32 v14, 0
	v_mul_f64 v[12:13], v[12:13], v[14:15]
	v_frexp_exp_i32_f64_e32 v16, v[10:11]
	v_add_f64 v[14:15], v[12:13], 1.0
	v_subbrev_co_u32_e32 v26, vcc, 0, v16, vcc
	v_rcp_f64_e32 v[16:17], v[14:15]
	v_add_f64 v[20:21], v[14:15], -1.0
	v_add_f64 v[18:19], v[12:13], -1.0
	v_add_f64 v[12:13], v[12:13], -v[20:21]
	v_fma_f64 v[20:21], -v[14:15], v[16:17], 1.0
	v_fmac_f64_e32 v[16:17], v[20:21], v[16:17]
	v_fma_f64 v[20:21], -v[14:15], v[16:17], 1.0
	v_fmac_f64_e32 v[16:17], v[20:21], v[16:17]
	v_mul_f64 v[20:21], v[18:19], v[16:17]
	v_mul_f64 v[22:23], v[14:15], v[20:21]
	v_fma_f64 v[14:15], v[20:21], v[14:15], -v[22:23]
	v_fmac_f64_e32 v[14:15], v[20:21], v[12:13]
	v_add_f64 v[12:13], v[22:23], v[14:15]
	v_add_f64 v[24:25], v[18:19], -v[12:13]
	v_add_f64 v[22:23], v[12:13], -v[22:23]
	;; [unrolled: 1-line block ×5, first 2 shown]
	v_add_f64 v[12:13], v[14:15], v[12:13]
	v_add_f64 v[12:13], v[24:25], v[12:13]
	v_mul_f64 v[12:13], v[16:17], v[12:13]
	v_add_f64 v[14:15], v[20:21], v[12:13]
	v_add_f64 v[16:17], v[14:15], -v[20:21]
	s_mov_b32 s4, 0xbf559e2b
	v_add_f64 v[12:13], v[12:13], -v[16:17]
	v_mul_f64 v[16:17], v[14:15], v[14:15]
	v_mov_b32_e32 v18, 0x6b47b09a
	v_mov_b32_e32 v19, 0x3fc38538
	s_mov_b32 s5, 0x3fc3ab76
	v_fmac_f64_e32 v[18:19], s[4:5], v[16:17]
	v_mov_b32_e32 v20, 0xd7f4df2e
	v_mov_b32_e32 v21, 0x3fc7474d
	v_fmac_f64_e32 v[20:21], v[16:17], v[18:19]
	v_mov_b32_e32 v18, 0x16291751
	v_mov_b32_e32 v19, 0x3fcc71c0
	;; [unrolled: 3-line block ×5, first 2 shown]
	v_fmac_f64_e32 v[20:21], v[16:17], v[18:19]
	v_ldexp_f64 v[18:19], v[14:15], 1
	v_mul_f64 v[14:15], v[14:15], v[16:17]
	v_mul_f64 v[14:15], v[14:15], v[20:21]
	v_add_f64 v[16:17], v[18:19], v[14:15]
	v_add_f64 v[18:19], v[16:17], -v[18:19]
	v_ldexp_f64 v[12:13], v[12:13], 1
	v_add_f64 v[14:15], v[14:15], -v[18:19]
	v_add_f64 v[12:13], v[12:13], v[14:15]
	v_add_f64 v[14:15], v[16:17], v[12:13]
	v_add_f64 v[16:17], v[14:15], -v[16:17]
	s_mov_b32 s4, 0xfefa39ef
	v_add_f64 v[12:13], v[12:13], -v[16:17]
	v_cvt_f64_i32_e32 v[16:17], v26
	s_mov_b32 s5, 0x3fe62e42
	v_mul_f64 v[18:19], v[16:17], s[4:5]
	v_fma_f64 v[20:21], v[16:17], s[4:5], -v[18:19]
	s_mov_b32 s4, 0x3b39803f
	s_mov_b32 s5, 0x3c7abc9e
	v_fmac_f64_e32 v[20:21], s[4:5], v[16:17]
	v_add_f64 v[16:17], v[18:19], v[20:21]
	v_add_f64 v[18:19], v[16:17], -v[18:19]
	v_add_f64 v[18:19], v[20:21], -v[18:19]
	v_add_f64 v[20:21], v[16:17], v[14:15]
	v_add_f64 v[22:23], v[20:21], -v[16:17]
	v_add_f64 v[24:25], v[20:21], -v[22:23]
	;; [unrolled: 1-line block ×4, first 2 shown]
	v_add_f64 v[14:15], v[14:15], v[16:17]
	v_add_f64 v[16:17], v[18:19], v[12:13]
	v_add_f64 v[22:23], v[16:17], -v[18:19]
	v_add_f64 v[24:25], v[16:17], -v[22:23]
	v_add_f64 v[14:15], v[16:17], v[14:15]
	v_add_f64 v[18:19], v[18:19], -v[24:25]
	v_add_f64 v[12:13], v[12:13], -v[22:23]
	v_add_f64 v[16:17], v[20:21], v[14:15]
	v_add_f64 v[12:13], v[12:13], v[18:19]
	v_add_f64 v[18:19], v[16:17], -v[20:21]
	v_add_f64 v[14:15], v[14:15], -v[18:19]
	s_mov_b32 s4, 0
	v_add_f32_e32 v8, 0xbf090b37, v8
	v_add_f64 v[12:13], v[12:13], v[14:15]
	s_mov_b32 s5, 0x7ff00000
	v_sub_f32_e32 v8, v8, v9
	v_add_f64 v[12:13], v[16:17], v[12:13]
	v_cmp_eq_f64_e32 vcc, s[4:5], v[10:11]
	v_mul_f32_e32 v8, 0.5, v8
	v_cndmask_b32_e32 v12, v12, v10, vcc
	v_cndmask_b32_e32 v13, v13, v11, vcc
	v_mov_b32_e32 v14, 0xfff00000
	v_cmp_neq_f64_e32 vcc, 0, v[10:11]
	v_cvt_f64_f32_e32 v[8:9], v8
	v_cndmask_b32_e32 v11, v14, v13, vcc
	v_cndmask_b32_e32 v10, 0, v12, vcc
	v_cvt_f64_f32_e32 v[12:13], v6
	v_fma_f64 v[8:9], -v[10:11], v[12:13], v[8:9]
	v_cvt_f32_f64_e32 v6, v[8:9]
.LBB17_35:
	s_andn2_saveexec_b64 s[14:15], s[14:15]
	s_cbranch_execz .LBB17_37
; %bb.36:
	s_mov_b32 s20, 0x41000000
	v_div_scale_f32 v6, s[4:5], v4, v4, s20
	v_rcp_f32_e32 v8, v6
	v_div_scale_f32 v9, vcc, s20, v4, s20
	s_mov_b32 s4, 0xbfb8aa3b
	v_fma_f32 v10, -v6, v8, 1.0
	v_fmac_f32_e32 v8, v10, v8
	v_mul_f32_e32 v10, v9, v8
	v_fma_f32 v11, -v6, v10, v9
	v_fmac_f32_e32 v10, v11, v8
	v_fma_f32 v6, -v6, v10, v9
	v_div_fmas_f32 v6, v6, v8, v10
	v_div_fixup_f32 v6, v6, v4, s20
	v_add_f32_e32 v6, -2.0, v6
	v_mov_b32_e32 v8, 0xa397f665
	v_fmac_f32_e32 v8, 0x22c38d2e, v6
	v_mov_b32_e32 v9, 0xa2c38d2e
	v_fmac_f32_e32 v9, v6, v8
	v_add_f32_e32 v9, 0x24704972, v9
	v_fma_f32 v8, v6, v9, -v8
	v_add_f32_e32 v8, 0xa5417ca4, v8
	v_fma_f32 v9, v6, v8, -v9
	;; [unrolled: 2-line block ×17, first 2 shown]
	v_add_f32_e32 v8, 0xb5f5daa4, v8
	v_mul_f32_e32 v10, 0xbfb8aa3b, v4
	v_fma_f32 v9, v6, v8, -v9
	v_rndne_f32_e32 v11, v10
	v_add_f32_e32 v9, 0x376a09fe, v9
	v_sub_f32_e32 v12, v10, v11
	v_fma_f32 v10, v4, s4, -v10
	v_fma_f32 v8, v6, v9, -v8
	v_fmac_f32_e32 v10, 0xb2a5705f, v4
	v_add_f32_e32 v8, 0xb906bcbf, v8
	v_add_f32_e32 v10, v12, v10
	v_fma_f32 v9, v6, v8, -v9
	v_exp_f32_e32 v10, v10
	v_cvt_i32_f32_e32 v11, v11
	v_add_f32_e32 v9, 0x3acdc490, v9
	v_fma_f32 v8, v6, v9, -v8
	v_add_f32_e32 v8, 0xbd00cfb9, v8
	s_mov_b32 s4, 0x42ce8ed0
	v_fma_f32 v6, v6, v8, -v9
	v_ldexp_f32 v8, v10, v11
	v_cmp_nlt_f32_e32 vcc, s4, v4
	s_mov_b32 s4, 0xc2b17218
	v_cndmask_b32_e32 v8, 0, v8, vcc
	v_mov_b32_e32 v10, 0x7f800000
	v_cmp_ngt_f32_e32 vcc, s4, v4
	s_mov_b32 s4, 0xf800000
	v_cndmask_b32_e32 v8, v10, v8, vcc
	v_mul_f32_e32 v10, 0x4f800000, v4
	v_cmp_gt_f32_e32 vcc, s4, v4
	v_cndmask_b32_e32 v4, v4, v10, vcc
	v_sqrt_f32_e32 v10, v4
	v_add_f32_e32 v6, 0x401c2ded, v6
	v_sub_f32_e32 v6, v6, v9
	v_mul_f32_e32 v6, 0.5, v6
	v_mul_f32_e32 v6, v8, v6
	v_add_u32_e32 v8, -1, v10
	v_fma_f32 v9, -v8, v10, v4
	v_cmp_ge_f32_e64 s[4:5], 0, v9
	v_add_u32_e32 v9, 1, v10
	v_cndmask_b32_e64 v8, v10, v8, s[4:5]
	v_fma_f32 v10, -v9, v10, v4
	v_cmp_lt_f32_e64 s[4:5], 0, v10
	v_cndmask_b32_e64 v8, v8, v9, s[4:5]
	v_mul_f32_e32 v9, 0x37800000, v8
	v_cndmask_b32_e32 v8, v8, v9, vcc
	v_mov_b32_e32 v9, 0x260
	v_cmp_class_f32_e32 vcc, v4, v9
	v_cndmask_b32_e32 v4, v8, v4, vcc
	v_div_scale_f32 v8, s[4:5], v4, v4, v6
	v_rcp_f32_e32 v9, v8
	v_fma_f32 v10, -v8, v9, 1.0
	v_fmac_f32_e32 v9, v10, v9
	v_div_scale_f32 v10, vcc, v6, v4, v6
	v_mul_f32_e32 v11, v10, v9
	v_fma_f32 v12, -v8, v11, v10
	v_fmac_f32_e32 v11, v12, v9
	v_fma_f32 v8, -v8, v11, v10
	v_div_fmas_f32 v8, v8, v9, v11
	v_div_fixup_f32 v6, v8, v4, v6
.LBB17_37:
	s_or_b64 exec, exec, s[14:15]
.LBB17_38:
	s_or_b64 exec, exec, s[12:13]
.LBB17_39:
	s_or_b64 exec, exec, s[10:11]
	v_cmp_neq_f32_e32 vcc, 0, v5
	s_and_saveexec_b64 s[10:11], vcc
	s_cbranch_execz .LBB17_51
; %bb.40:
	v_cmp_ngt_f32_e32 vcc, 0, v5
	v_mov_b32_e32 v7, 0x7fc00000
	s_and_saveexec_b64 s[12:13], vcc
	s_cbranch_execz .LBB17_50
; %bb.41:
	v_cmp_ge_f32_e32 vcc, 2.0, v5
	s_and_saveexec_b64 s[4:5], vcc
	s_xor_b64 s[14:15], exec, s[4:5]
	s_cbranch_execz .LBB17_47
; %bb.42:
	s_mov_b32 s4, 0x41000000
	v_cmp_ge_f32_e32 vcc, s4, v5
                                        ; implicit-def: $vgpr4
	s_and_saveexec_b64 s[4:5], vcc
	s_xor_b64 s[4:5], exec, s[4:5]
	s_cbranch_execz .LBB17_44
; %bb.43:
	v_fma_f32 v4, v5, 0.5, -2.0
	v_mov_b32_e32 v7, 0x24199b15
	v_fmac_f32_e32 v7, 0xa2a2e5b9, v4
	v_mov_b32_e32 v8, 0x22a2e5b9
	v_fmac_f32_e32 v8, v4, v7
	v_add_f32_e32 v8, 0xa58c275c, v8
	v_fma_f32 v7, v4, v8, -v7
	v_add_f32_e32 v7, 0x26f736c5, v7
	v_fma_f32 v8, v4, v7, -v8
	;; [unrolled: 2-line block ×23, first 2 shown]
	v_mul_f32_e32 v9, 0x3fb8aa3b, v5
	v_add_f32_e32 v7, 0x3d49f456, v7
	s_mov_b32 s20, 0x3fb8aa3b
	v_rndne_f32_e32 v10, v9
	v_fma_f32 v8, v4, v7, -v8
	v_sub_f32_e32 v11, v9, v10
	v_fma_f32 v9, v5, s20, -v9
	v_add_f32_e32 v8, 0xbdc25b82, v8
	v_fmac_f32_e32 v9, 0x32a5705f, v5
	v_fma_f32 v7, v4, v8, -v7
	v_add_f32_e32 v9, v11, v9
	v_add_f32_e32 v7, 0x3e2fbd64, v7
	v_exp_f32_e32 v9, v9
	v_cvt_i32_f32_e32 v10, v10
	v_fma_f32 v8, v4, v7, -v8
	v_add_f32_e32 v8, 0xbe9bff5e, v8
	v_fma_f32 v4, v4, v8, -v7
	s_mov_b32 s20, 0xc2ce8ed0
	v_add_f32_e32 v4, 0x3f2d4275, v4
	v_ldexp_f32 v8, v9, v10
	v_cmp_ngt_f32_e32 vcc, s20, v5
	s_mov_b32 s20, 0x42b17218
	v_cndmask_b32_e32 v8, 0, v8, vcc
	v_mov_b32_e32 v9, 0x7f800000
	v_cmp_nlt_f32_e32 vcc, s20, v5
	v_sub_f32_e32 v4, v4, v7
	v_cndmask_b32_e32 v8, v9, v8, vcc
	v_mul_f32_e32 v4, 0.5, v4
	v_mul_f32_e32 v4, v8, v4
.LBB17_44:
	s_andn2_saveexec_b64 s[20:21], s[4:5]
	s_cbranch_execz .LBB17_46
; %bb.45:
	s_mov_b32 s22, 0x42000000
	v_div_scale_f32 v4, s[4:5], v5, v5, s22
	v_rcp_f32_e32 v7, v4
	v_div_scale_f32 v8, vcc, s22, v5, s22
	s_mov_b32 s4, 0x3fb8aa3b
	v_fma_f32 v9, -v4, v7, 1.0
	v_fmac_f32_e32 v7, v9, v7
	v_mul_f32_e32 v9, v8, v7
	v_fma_f32 v10, -v4, v9, v8
	v_fmac_f32_e32 v9, v10, v7
	v_fma_f32 v4, -v4, v9, v8
	v_div_fmas_f32 v4, v4, v7, v9
	v_div_fixup_f32 v4, v4, v5, s22
	v_add_f32_e32 v4, -2.0, v4
	v_mov_b32_e32 v7, 0xa2b236d3
	v_fmac_f32_e32 v7, 0xa3056dbb, v4
	v_mov_b32_e32 v8, 0x23056dbb
	v_fmac_f32_e32 v8, v4, v7
	v_add_f32_e32 v8, 0x244df0c1, v8
	v_fma_f32 v7, v4, v8, -v7
	v_add_f32_e32 v7, 0x241f9ee8, v7
	v_fma_f32 v8, v4, v7, -v8
	v_add_f32_e32 v8, 0xa5a3005d, v8
	v_fma_f32 v7, v4, v8, -v7
	v_add_f32_e32 v7, 0xa5c5773f, v7
	v_fma_f32 v8, v4, v7, -v8
	v_add_f32_e32 v8, 0x26ff73ed, v8
	v_fma_f32 v7, v4, v8, -v7
	v_add_f32_e32 v7, 0x2789548d, v7
	v_fma_f32 v8, v4, v7, -v8
	v_add_f32_e32 v8, 0xa82c1ff4, v8
	v_fma_f32 v7, v4, v8, -v7
	v_add_f32_e32 v7, 0xa93aecce, v7
	v_fma_f32 v8, v4, v7, -v8
	v_add_f32_e32 v8, 0x288ab7f8, v8
	v_fma_f32 v7, v4, v8, -v7
	v_add_f32_e32 v7, 0x2ad8e463, v7
	v_fma_f32 v8, v4, v7, -v8
	v_add_f32_e32 v8, 0x2b4a1a40, v8
	v_fma_f32 v7, v4, v8, -v7
	v_add_f32_e32 v7, 0xabfc8218, v7
	v_fma_f32 v8, v4, v7, -v8
	v_add_f32_e32 v8, 0xad687eba, v8
	v_fma_f32 v7, v4, v8, -v7
	v_add_f32_e32 v7, 0xae0a88e8, v7
	v_fma_f32 v8, v4, v7, -v8
	v_add_f32_e32 v8, 0x2d5127f5, v8
	v_fma_f32 v7, v4, v8, -v7
	v_add_f32_e32 v7, 0x3007ce66, v7
	v_fma_f32 v8, v4, v7, -v8
	v_add_f32_e32 v8, 0x31696325, v8
	v_fma_f32 v7, v4, v8, -v7
	v_add_f32_e32 v7, 0x32c2b494, v7
	v_mul_f32_e32 v9, 0x3fb8aa3b, v5
	v_fma_f32 v8, v4, v7, -v8
	v_rndne_f32_e32 v10, v9
	v_add_f32_e32 v8, 0x345c003f, v8
	v_sub_f32_e32 v11, v9, v10
	v_fma_f32 v9, v5, s4, -v9
	v_fma_f32 v7, v4, v8, -v7
	v_fmac_f32_e32 v9, 0x32a5705f, v5
	v_add_f32_e32 v7, 0x3642095e, v7
	v_add_f32_e32 v9, v11, v9
	v_fma_f32 v8, v4, v7, -v8
	v_exp_f32_e32 v9, v9
	v_cvt_i32_f32_e32 v10, v10
	v_add_f32_e32 v8, 0x38907d1c, v8
	v_fma_f32 v7, v4, v8, -v7
	v_add_f32_e32 v7, 0x3b5ccc65, v7
	s_mov_b32 s4, 0xc2ce8ed0
	v_fma_f32 v4, v4, v7, -v8
	v_ldexp_f32 v7, v9, v10
	v_cmp_ngt_f32_e32 vcc, s4, v5
	s_mov_b32 s4, 0x42b17218
	v_cndmask_b32_e32 v7, 0, v7, vcc
	v_mov_b32_e32 v9, 0x7f800000
	v_cmp_nlt_f32_e32 vcc, s4, v5
	s_mov_b32 s4, 0xf800000
	v_cndmask_b32_e32 v7, v9, v7, vcc
	v_mul_f32_e32 v9, 0x4f800000, v5
	v_cmp_gt_f32_e32 vcc, s4, v5
	v_cndmask_b32_e32 v9, v5, v9, vcc
	v_sqrt_f32_e32 v10, v9
	v_add_f32_e32 v4, 0x3f4df315, v4
	v_sub_f32_e32 v4, v4, v8
	v_mul_f32_e32 v4, 0.5, v4
	v_mul_f32_e32 v4, v7, v4
	v_add_u32_e32 v7, -1, v10
	v_fma_f32 v8, -v7, v10, v9
	v_cmp_ge_f32_e64 s[4:5], 0, v8
	v_add_u32_e32 v8, 1, v10
	v_cndmask_b32_e64 v7, v10, v7, s[4:5]
	v_fma_f32 v10, -v8, v10, v9
	v_cmp_lt_f32_e64 s[4:5], 0, v10
	v_cndmask_b32_e64 v7, v7, v8, s[4:5]
	v_mul_f32_e32 v8, 0x37800000, v7
	v_cndmask_b32_e32 v7, v7, v8, vcc
	v_mov_b32_e32 v8, 0x260
	v_cmp_class_f32_e32 vcc, v9, v8
	v_cndmask_b32_e32 v7, v7, v9, vcc
	v_div_scale_f32 v8, s[4:5], v7, v7, v4
	v_rcp_f32_e32 v9, v8
	v_fma_f32 v10, -v8, v9, 1.0
	v_fmac_f32_e32 v9, v10, v9
	v_div_scale_f32 v10, vcc, v4, v7, v4
	v_mul_f32_e32 v11, v10, v9
	v_fma_f32 v12, -v8, v11, v10
	v_fmac_f32_e32 v11, v12, v9
	v_fma_f32 v8, -v8, v11, v10
	v_div_fmas_f32 v8, v8, v9, v11
	v_div_fixup_f32 v4, v8, v7, v4
.LBB17_46:
	s_or_b64 exec, exec, s[20:21]
	v_fma_f32 v7, v5, v5, -2.0
	v_mov_b32_e32 v8, 0x293fd856
	v_fmac_f32_e32 v8, 0x251e770f, v7
	v_mov_b32_e32 v9, 0xa51e770f
	v_fmac_f32_e32 v9, v7, v8
	v_add_f32_e32 v9, 0x2d3612e2, v9
	v_fma_f32 v8, v7, v9, -v8
	v_add_f32_e32 v8, 0x3102e09b, v8
	v_fma_f32 v9, v7, v8, -v9
	;; [unrolled: 2-line block ×7, first 2 shown]
	v_add_f32_e32 v7, 0xbf090b37, v7
	v_cvt_f64_f32_e32 v[10:11], v5
	v_sub_f32_e32 v7, v7, v8
	v_mul_f64 v[10:11], v[10:11], 0.5
	s_mov_b32 s4, 0x55555555
	v_mul_f32_e32 v7, 0.5, v7
	v_frexp_mant_f64_e32 v[12:13], v[10:11]
	s_mov_b32 s5, 0x3fe55555
	v_cvt_f64_f32_e32 v[8:9], v7
	v_mov_b32_e32 v7, 0x3ff00000
	v_cmp_gt_f64_e32 vcc, s[4:5], v[12:13]
	v_cndmask_b32_e64 v15, v7, 2.0, vcc
	v_mov_b32_e32 v14, 0
	v_mul_f64 v[12:13], v[12:13], v[14:15]
	v_add_f64 v[14:15], v[12:13], 1.0
	v_rcp_f64_e32 v[16:17], v[14:15]
	v_add_f64 v[20:21], v[14:15], -1.0
	v_add_f64 v[18:19], v[12:13], -1.0
	v_add_f64 v[12:13], v[12:13], -v[20:21]
	v_fma_f64 v[20:21], -v[14:15], v[16:17], 1.0
	v_fmac_f64_e32 v[16:17], v[20:21], v[16:17]
	v_fma_f64 v[20:21], -v[14:15], v[16:17], 1.0
	v_fmac_f64_e32 v[16:17], v[20:21], v[16:17]
	v_mul_f64 v[20:21], v[18:19], v[16:17]
	v_mul_f64 v[22:23], v[14:15], v[20:21]
	v_fma_f64 v[14:15], v[20:21], v[14:15], -v[22:23]
	v_fmac_f64_e32 v[14:15], v[20:21], v[12:13]
	v_add_f64 v[12:13], v[22:23], v[14:15]
	v_add_f64 v[24:25], v[18:19], -v[12:13]
	v_add_f64 v[22:23], v[12:13], -v[22:23]
	;; [unrolled: 1-line block ×5, first 2 shown]
	v_add_f64 v[12:13], v[14:15], v[12:13]
	v_add_f64 v[12:13], v[24:25], v[12:13]
	v_mul_f64 v[12:13], v[16:17], v[12:13]
	v_add_f64 v[14:15], v[20:21], v[12:13]
	v_add_f64 v[16:17], v[14:15], -v[20:21]
	s_mov_b32 s4, 0xbf559e2b
	v_add_f64 v[12:13], v[12:13], -v[16:17]
	v_mul_f64 v[16:17], v[14:15], v[14:15]
	v_mov_b32_e32 v18, 0x6b47b09a
	v_mov_b32_e32 v19, 0x3fc38538
	s_mov_b32 s5, 0x3fc3ab76
	v_fmac_f64_e32 v[18:19], s[4:5], v[16:17]
	v_mov_b32_e32 v20, 0xd7f4df2e
	v_mov_b32_e32 v21, 0x3fc7474d
	v_fmac_f64_e32 v[20:21], v[16:17], v[18:19]
	v_mov_b32_e32 v18, 0x16291751
	v_mov_b32_e32 v19, 0x3fcc71c0
	;; [unrolled: 3-line block ×5, first 2 shown]
	v_fmac_f64_e32 v[20:21], v[16:17], v[18:19]
	v_ldexp_f64 v[18:19], v[14:15], 1
	v_mul_f64 v[14:15], v[14:15], v[16:17]
	v_mul_f64 v[14:15], v[14:15], v[20:21]
	v_add_f64 v[16:17], v[18:19], v[14:15]
	v_add_f64 v[18:19], v[16:17], -v[18:19]
	v_ldexp_f64 v[12:13], v[12:13], 1
	v_add_f64 v[14:15], v[14:15], -v[18:19]
	v_add_f64 v[12:13], v[12:13], v[14:15]
	v_frexp_exp_i32_f64_e32 v5, v[10:11]
	v_add_f64 v[14:15], v[16:17], v[12:13]
	v_subbrev_co_u32_e32 v5, vcc, 0, v5, vcc
	v_add_f64 v[16:17], v[14:15], -v[16:17]
	s_mov_b32 s4, 0xfefa39ef
	v_add_f64 v[12:13], v[12:13], -v[16:17]
	v_cvt_f64_i32_e32 v[16:17], v5
	s_mov_b32 s5, 0x3fe62e42
	v_mul_f64 v[18:19], v[16:17], s[4:5]
	v_fma_f64 v[20:21], v[16:17], s[4:5], -v[18:19]
	s_mov_b32 s4, 0x3b39803f
	s_mov_b32 s5, 0x3c7abc9e
	v_fmac_f64_e32 v[20:21], s[4:5], v[16:17]
	v_add_f64 v[16:17], v[18:19], v[20:21]
	v_add_f64 v[18:19], v[16:17], -v[18:19]
	v_add_f64 v[18:19], v[20:21], -v[18:19]
	v_add_f64 v[20:21], v[16:17], v[14:15]
	v_add_f64 v[22:23], v[20:21], -v[16:17]
	v_add_f64 v[24:25], v[20:21], -v[22:23]
	;; [unrolled: 1-line block ×4, first 2 shown]
	v_add_f64 v[14:15], v[14:15], v[16:17]
	v_add_f64 v[16:17], v[18:19], v[12:13]
	v_add_f64 v[22:23], v[16:17], -v[18:19]
	v_add_f64 v[24:25], v[16:17], -v[22:23]
	v_add_f64 v[14:15], v[16:17], v[14:15]
	v_add_f64 v[18:19], v[18:19], -v[24:25]
	v_add_f64 v[12:13], v[12:13], -v[22:23]
	v_add_f64 v[16:17], v[20:21], v[14:15]
	v_add_f64 v[12:13], v[12:13], v[18:19]
	v_add_f64 v[18:19], v[16:17], -v[20:21]
	v_add_f64 v[14:15], v[14:15], -v[18:19]
	s_mov_b32 s4, 0
	v_add_f64 v[12:13], v[12:13], v[14:15]
	s_mov_b32 s5, 0x7ff00000
	v_add_f64 v[12:13], v[16:17], v[12:13]
	v_cmp_eq_f64_e32 vcc, s[4:5], v[10:11]
	v_cndmask_b32_e32 v5, v12, v10, vcc
	v_cndmask_b32_e32 v7, v13, v11, vcc
	v_mov_b32_e32 v12, 0xfff00000
	v_cmp_neq_f64_e32 vcc, 0, v[10:11]
	v_cndmask_b32_e32 v11, v12, v7, vcc
	v_cndmask_b32_e32 v10, 0, v5, vcc
	v_cvt_f64_f32_e32 v[4:5], v4
	v_fma_f64 v[4:5], -v[10:11], v[4:5], v[8:9]
	v_cvt_f32_f64_e32 v7, v[4:5]
                                        ; implicit-def: $vgpr4_vgpr5
.LBB17_47:
	s_andn2_saveexec_b64 s[14:15], s[14:15]
	s_cbranch_execz .LBB17_49
; %bb.48:
	s_mov_b32 s20, 0x41000000
	v_div_scale_f32 v4, s[4:5], v5, v5, s20
	v_rcp_f32_e32 v7, v4
	v_div_scale_f32 v8, vcc, s20, v5, s20
	s_mov_b32 s4, 0xbfb8aa3b
	v_fma_f32 v9, -v4, v7, 1.0
	v_fmac_f32_e32 v7, v9, v7
	v_mul_f32_e32 v9, v8, v7
	v_fma_f32 v10, -v4, v9, v8
	v_fmac_f32_e32 v9, v10, v7
	v_fma_f32 v4, -v4, v9, v8
	v_div_fmas_f32 v4, v4, v7, v9
	v_div_fixup_f32 v4, v4, v5, s20
	v_add_f32_e32 v4, -2.0, v4
	v_mov_b32_e32 v7, 0xa397f665
	v_fmac_f32_e32 v7, 0x22c38d2e, v4
	v_mov_b32_e32 v8, 0xa2c38d2e
	v_fmac_f32_e32 v8, v4, v7
	v_add_f32_e32 v8, 0x24704972, v8
	v_fma_f32 v7, v4, v8, -v7
	v_add_f32_e32 v7, 0xa5417ca4, v7
	v_fma_f32 v8, v4, v7, -v8
	;; [unrolled: 2-line block ×17, first 2 shown]
	v_add_f32_e32 v7, 0xb5f5daa4, v7
	v_mul_f32_e32 v9, 0xbfb8aa3b, v5
	v_fma_f32 v8, v4, v7, -v8
	v_rndne_f32_e32 v10, v9
	v_add_f32_e32 v8, 0x376a09fe, v8
	v_sub_f32_e32 v11, v9, v10
	v_fma_f32 v9, v5, s4, -v9
	v_fma_f32 v7, v4, v8, -v7
	v_fmac_f32_e32 v9, 0xb2a5705f, v5
	v_add_f32_e32 v7, 0xb906bcbf, v7
	v_add_f32_e32 v9, v11, v9
	v_fma_f32 v8, v4, v7, -v8
	v_exp_f32_e32 v9, v9
	v_cvt_i32_f32_e32 v10, v10
	v_add_f32_e32 v8, 0x3acdc490, v8
	v_fma_f32 v7, v4, v8, -v7
	v_add_f32_e32 v7, 0xbd00cfb9, v7
	s_mov_b32 s4, 0x42ce8ed0
	v_fma_f32 v4, v4, v7, -v8
	v_ldexp_f32 v7, v9, v10
	v_cmp_nlt_f32_e32 vcc, s4, v5
	s_mov_b32 s4, 0xc2b17218
	v_cndmask_b32_e32 v7, 0, v7, vcc
	v_mov_b32_e32 v9, 0x7f800000
	v_cmp_ngt_f32_e32 vcc, s4, v5
	s_mov_b32 s4, 0xf800000
	v_cndmask_b32_e32 v7, v9, v7, vcc
	v_mul_f32_e32 v9, 0x4f800000, v5
	v_cmp_gt_f32_e32 vcc, s4, v5
	v_cndmask_b32_e32 v5, v5, v9, vcc
	v_sqrt_f32_e32 v9, v5
	v_add_f32_e32 v4, 0x401c2ded, v4
	v_sub_f32_e32 v4, v4, v8
	v_mul_f32_e32 v4, 0.5, v4
	v_mul_f32_e32 v4, v7, v4
	v_add_u32_e32 v7, -1, v9
	v_fma_f32 v8, -v7, v9, v5
	v_cmp_ge_f32_e64 s[4:5], 0, v8
	v_add_u32_e32 v8, 1, v9
	v_cndmask_b32_e64 v7, v9, v7, s[4:5]
	v_fma_f32 v9, -v8, v9, v5
	v_cmp_lt_f32_e64 s[4:5], 0, v9
	v_cndmask_b32_e64 v7, v7, v8, s[4:5]
	v_mul_f32_e32 v8, 0x37800000, v7
	v_cndmask_b32_e32 v7, v7, v8, vcc
	v_mov_b32_e32 v8, 0x260
	v_cmp_class_f32_e32 vcc, v5, v8
	v_cndmask_b32_e32 v5, v7, v5, vcc
	v_div_scale_f32 v7, s[4:5], v5, v5, v4
	v_rcp_f32_e32 v8, v7
	v_fma_f32 v9, -v7, v8, 1.0
	v_fmac_f32_e32 v8, v9, v8
	v_div_scale_f32 v9, vcc, v4, v5, v4
	v_mul_f32_e32 v10, v9, v8
	v_fma_f32 v11, -v7, v10, v9
	v_fmac_f32_e32 v10, v11, v8
	v_fma_f32 v7, -v7, v10, v9
	v_div_fmas_f32 v7, v7, v8, v10
	v_div_fixup_f32 v7, v7, v5, v4
.LBB17_49:
	s_or_b64 exec, exec, s[14:15]
.LBB17_50:
	s_or_b64 exec, exec, s[12:13]
.LBB17_51:
	s_or_b64 exec, exec, s[10:11]
	s_add_u32 s4, s16, s6
	s_addc_u32 s5, s17, s7
	global_store_dwordx2 v1, v[2:3], s[4:5]
	global_store_dwordx2 v1, v[6:7], s[4:5] offset:2048
	s_branch .LBB17_2
.LBB17_52:
	s_mov_b32 s12, s8
	v_mov_b32_e32 v31, v0
	v_mov_b32_e32 v0, s16
	v_mov_b32_e32 v1, s17
	v_mov_b32_e32 v2, s18
	v_mov_b32_e32 v3, s19
	v_mov_b32_e32 v4, s9
	s_getpc_b64 s[4:5]
	s_add_u32 s4, s4, _ZN2at6native25elementwise_kernel_helperILb0EZZZNS0_12_GLOBAL__N_130modified_bessel_k0_kernel_cudaERNS_18TensorIteratorBaseEENKUlvE_clEvENKUlvE0_clEvEUlfE_NS0_6memory8policies11unroll_baseILi256ESt5arrayIPcLm2EE23TrivialOffsetCalculatorILi1EjESF_NS8_15LoadWithoutCastENS8_16StoreWithoutCastELi4ELi1EEEEEvT0_T1_@rel32@lo+4
	s_addc_u32 s5, s5, _ZN2at6native25elementwise_kernel_helperILb0EZZZNS0_12_GLOBAL__N_130modified_bessel_k0_kernel_cudaERNS_18TensorIteratorBaseEENKUlvE_clEvENKUlvE0_clEvEUlfE_NS0_6memory8policies11unroll_baseILi256ESt5arrayIPcLm2EE23TrivialOffsetCalculatorILi1EjESF_NS8_15LoadWithoutCastENS8_16StoreWithoutCastELi4ELi1EEEEEvT0_T1_@rel32@hi+12
	s_swappc_b64 s[30:31], s[4:5]
	s_endpgm
	.section	.rodata,"a",@progbits
	.p2align	6, 0x0
	.amdhsa_kernel _ZN2at6native29vectorized_elementwise_kernelILi2EZZZNS0_12_GLOBAL__N_130modified_bessel_k0_kernel_cudaERNS_18TensorIteratorBaseEENKUlvE_clEvENKUlvE0_clEvEUlfE_St5arrayIPcLm2EEEEviT0_T1_
		.amdhsa_group_segment_fixed_size 0
		.amdhsa_private_segment_fixed_size 0
		.amdhsa_kernarg_size 24
		.amdhsa_user_sgpr_count 8
		.amdhsa_user_sgpr_private_segment_buffer 1
		.amdhsa_user_sgpr_dispatch_ptr 0
		.amdhsa_user_sgpr_queue_ptr 0
		.amdhsa_user_sgpr_kernarg_segment_ptr 1
		.amdhsa_user_sgpr_dispatch_id 0
		.amdhsa_user_sgpr_flat_scratch_init 1
		.amdhsa_user_sgpr_kernarg_preload_length 0
		.amdhsa_user_sgpr_kernarg_preload_offset 0
		.amdhsa_user_sgpr_private_segment_size 0
		.amdhsa_uses_dynamic_stack 0
		.amdhsa_system_sgpr_private_segment_wavefront_offset 0
		.amdhsa_system_sgpr_workgroup_id_x 1
		.amdhsa_system_sgpr_workgroup_id_y 0
		.amdhsa_system_sgpr_workgroup_id_z 0
		.amdhsa_system_sgpr_workgroup_info 0
		.amdhsa_system_vgpr_workitem_id 0
		.amdhsa_next_free_vgpr 32
		.amdhsa_next_free_sgpr 33
		.amdhsa_accum_offset 32
		.amdhsa_reserve_vcc 1
		.amdhsa_reserve_flat_scratch 1
		.amdhsa_float_round_mode_32 0
		.amdhsa_float_round_mode_16_64 0
		.amdhsa_float_denorm_mode_32 3
		.amdhsa_float_denorm_mode_16_64 3
		.amdhsa_dx10_clamp 1
		.amdhsa_ieee_mode 1
		.amdhsa_fp16_overflow 0
		.amdhsa_tg_split 0
		.amdhsa_exception_fp_ieee_invalid_op 0
		.amdhsa_exception_fp_denorm_src 0
		.amdhsa_exception_fp_ieee_div_zero 0
		.amdhsa_exception_fp_ieee_overflow 0
		.amdhsa_exception_fp_ieee_underflow 0
		.amdhsa_exception_fp_ieee_inexact 0
		.amdhsa_exception_int_div_zero 0
	.end_amdhsa_kernel
	.section	.text._ZN2at6native29vectorized_elementwise_kernelILi2EZZZNS0_12_GLOBAL__N_130modified_bessel_k0_kernel_cudaERNS_18TensorIteratorBaseEENKUlvE_clEvENKUlvE0_clEvEUlfE_St5arrayIPcLm2EEEEviT0_T1_,"axG",@progbits,_ZN2at6native29vectorized_elementwise_kernelILi2EZZZNS0_12_GLOBAL__N_130modified_bessel_k0_kernel_cudaERNS_18TensorIteratorBaseEENKUlvE_clEvENKUlvE0_clEvEUlfE_St5arrayIPcLm2EEEEviT0_T1_,comdat
.Lfunc_end17:
	.size	_ZN2at6native29vectorized_elementwise_kernelILi2EZZZNS0_12_GLOBAL__N_130modified_bessel_k0_kernel_cudaERNS_18TensorIteratorBaseEENKUlvE_clEvENKUlvE0_clEvEUlfE_St5arrayIPcLm2EEEEviT0_T1_, .Lfunc_end17-_ZN2at6native29vectorized_elementwise_kernelILi2EZZZNS0_12_GLOBAL__N_130modified_bessel_k0_kernel_cudaERNS_18TensorIteratorBaseEENKUlvE_clEvENKUlvE0_clEvEUlfE_St5arrayIPcLm2EEEEviT0_T1_
                                        ; -- End function
	.section	.AMDGPU.csdata,"",@progbits
; Kernel info:
; codeLenInByte = 12904
; NumSgprs: 39
; NumVgprs: 32
; NumAgprs: 0
; TotalNumVgprs: 32
; ScratchSize: 0
; MemoryBound: 0
; FloatMode: 240
; IeeeMode: 1
; LDSByteSize: 0 bytes/workgroup (compile time only)
; SGPRBlocks: 4
; VGPRBlocks: 3
; NumSGPRsForWavesPerEU: 39
; NumVGPRsForWavesPerEU: 32
; AccumOffset: 32
; Occupancy: 8
; WaveLimiterHint : 1
; COMPUTE_PGM_RSRC2:SCRATCH_EN: 0
; COMPUTE_PGM_RSRC2:USER_SGPR: 8
; COMPUTE_PGM_RSRC2:TRAP_HANDLER: 0
; COMPUTE_PGM_RSRC2:TGID_X_EN: 1
; COMPUTE_PGM_RSRC2:TGID_Y_EN: 0
; COMPUTE_PGM_RSRC2:TGID_Z_EN: 0
; COMPUTE_PGM_RSRC2:TIDIG_COMP_CNT: 0
; COMPUTE_PGM_RSRC3_GFX90A:ACCUM_OFFSET: 7
; COMPUTE_PGM_RSRC3_GFX90A:TG_SPLIT: 0
	.section	.text._ZN2at6native27unrolled_elementwise_kernelIZZZNS0_12_GLOBAL__N_130modified_bessel_k0_kernel_cudaERNS_18TensorIteratorBaseEENKUlvE_clEvENKUlvE0_clEvEUlfE_St5arrayIPcLm2EELi4E23TrivialOffsetCalculatorILi1EjESC_NS0_6memory15LoadWithoutCastENSD_16StoreWithoutCastEEEviT_T0_T2_T3_T4_T5_,"axG",@progbits,_ZN2at6native27unrolled_elementwise_kernelIZZZNS0_12_GLOBAL__N_130modified_bessel_k0_kernel_cudaERNS_18TensorIteratorBaseEENKUlvE_clEvENKUlvE0_clEvEUlfE_St5arrayIPcLm2EELi4E23TrivialOffsetCalculatorILi1EjESC_NS0_6memory15LoadWithoutCastENSD_16StoreWithoutCastEEEviT_T0_T2_T3_T4_T5_,comdat
	.globl	_ZN2at6native27unrolled_elementwise_kernelIZZZNS0_12_GLOBAL__N_130modified_bessel_k0_kernel_cudaERNS_18TensorIteratorBaseEENKUlvE_clEvENKUlvE0_clEvEUlfE_St5arrayIPcLm2EELi4E23TrivialOffsetCalculatorILi1EjESC_NS0_6memory15LoadWithoutCastENSD_16StoreWithoutCastEEEviT_T0_T2_T3_T4_T5_ ; -- Begin function _ZN2at6native27unrolled_elementwise_kernelIZZZNS0_12_GLOBAL__N_130modified_bessel_k0_kernel_cudaERNS_18TensorIteratorBaseEENKUlvE_clEvENKUlvE0_clEvEUlfE_St5arrayIPcLm2EELi4E23TrivialOffsetCalculatorILi1EjESC_NS0_6memory15LoadWithoutCastENSD_16StoreWithoutCastEEEviT_T0_T2_T3_T4_T5_
	.p2align	8
	.type	_ZN2at6native27unrolled_elementwise_kernelIZZZNS0_12_GLOBAL__N_130modified_bessel_k0_kernel_cudaERNS_18TensorIteratorBaseEENKUlvE_clEvENKUlvE0_clEvEUlfE_St5arrayIPcLm2EELi4E23TrivialOffsetCalculatorILi1EjESC_NS0_6memory15LoadWithoutCastENSD_16StoreWithoutCastEEEviT_T0_T2_T3_T4_T5_,@function
_ZN2at6native27unrolled_elementwise_kernelIZZZNS0_12_GLOBAL__N_130modified_bessel_k0_kernel_cudaERNS_18TensorIteratorBaseEENKUlvE_clEvENKUlvE0_clEvEUlfE_St5arrayIPcLm2EELi4E23TrivialOffsetCalculatorILi1EjESC_NS0_6memory15LoadWithoutCastENSD_16StoreWithoutCastEEEviT_T0_T2_T3_T4_T5_: ; @_ZN2at6native27unrolled_elementwise_kernelIZZZNS0_12_GLOBAL__N_130modified_bessel_k0_kernel_cudaERNS_18TensorIteratorBaseEENKUlvE_clEvENKUlvE0_clEvEUlfE_St5arrayIPcLm2EELi4E23TrivialOffsetCalculatorILi1EjESC_NS0_6memory15LoadWithoutCastENSD_16StoreWithoutCastEEEviT_T0_T2_T3_T4_T5_
; %bb.0:
	s_add_u32 flat_scratch_lo, s6, s9
	s_load_dword s6, s[4:5], 0x0
	s_load_dwordx4 s[16:19], s[4:5], 0x8
	s_addc_u32 flat_scratch_hi, s7, 0
	s_add_u32 s0, s0, s9
	s_addc_u32 s1, s1, 0
	s_lshl_b32 s4, s8, 10
	s_waitcnt lgkmcnt(0)
	s_sub_i32 s6, s6, s4
	s_mov_b32 s12, s8
	v_mov_b32_e32 v31, v0
	v_mov_b32_e32 v0, s16
	;; [unrolled: 1-line block ×6, first 2 shown]
	s_mov_b32 s32, 0
	s_getpc_b64 s[4:5]
	s_add_u32 s4, s4, _ZN2at6native25elementwise_kernel_helperILb0EZZZNS0_12_GLOBAL__N_130modified_bessel_k0_kernel_cudaERNS_18TensorIteratorBaseEENKUlvE_clEvENKUlvE0_clEvEUlfE_NS0_6memory8policies11unroll_baseILi256ESt5arrayIPcLm2EE23TrivialOffsetCalculatorILi1EjESF_NS8_15LoadWithoutCastENS8_16StoreWithoutCastELi4ELi1EEEEEvT0_T1_@rel32@lo+4
	s_addc_u32 s5, s5, _ZN2at6native25elementwise_kernel_helperILb0EZZZNS0_12_GLOBAL__N_130modified_bessel_k0_kernel_cudaERNS_18TensorIteratorBaseEENKUlvE_clEvENKUlvE0_clEvEUlfE_NS0_6memory8policies11unroll_baseILi256ESt5arrayIPcLm2EE23TrivialOffsetCalculatorILi1EjESF_NS8_15LoadWithoutCastENS8_16StoreWithoutCastELi4ELi1EEEEEvT0_T1_@rel32@hi+12
	s_swappc_b64 s[30:31], s[4:5]
	s_endpgm
	.section	.rodata,"a",@progbits
	.p2align	6, 0x0
	.amdhsa_kernel _ZN2at6native27unrolled_elementwise_kernelIZZZNS0_12_GLOBAL__N_130modified_bessel_k0_kernel_cudaERNS_18TensorIteratorBaseEENKUlvE_clEvENKUlvE0_clEvEUlfE_St5arrayIPcLm2EELi4E23TrivialOffsetCalculatorILi1EjESC_NS0_6memory15LoadWithoutCastENSD_16StoreWithoutCastEEEviT_T0_T2_T3_T4_T5_
		.amdhsa_group_segment_fixed_size 0
		.amdhsa_private_segment_fixed_size 0
		.amdhsa_kernarg_size 28
		.amdhsa_user_sgpr_count 8
		.amdhsa_user_sgpr_private_segment_buffer 1
		.amdhsa_user_sgpr_dispatch_ptr 0
		.amdhsa_user_sgpr_queue_ptr 0
		.amdhsa_user_sgpr_kernarg_segment_ptr 1
		.amdhsa_user_sgpr_dispatch_id 0
		.amdhsa_user_sgpr_flat_scratch_init 1
		.amdhsa_user_sgpr_kernarg_preload_length 0
		.amdhsa_user_sgpr_kernarg_preload_offset 0
		.amdhsa_user_sgpr_private_segment_size 0
		.amdhsa_uses_dynamic_stack 0
		.amdhsa_system_sgpr_private_segment_wavefront_offset 0
		.amdhsa_system_sgpr_workgroup_id_x 1
		.amdhsa_system_sgpr_workgroup_id_y 0
		.amdhsa_system_sgpr_workgroup_id_z 0
		.amdhsa_system_sgpr_workgroup_info 0
		.amdhsa_system_vgpr_workitem_id 0
		.amdhsa_next_free_vgpr 32
		.amdhsa_next_free_sgpr 33
		.amdhsa_accum_offset 32
		.amdhsa_reserve_vcc 1
		.amdhsa_reserve_flat_scratch 1
		.amdhsa_float_round_mode_32 0
		.amdhsa_float_round_mode_16_64 0
		.amdhsa_float_denorm_mode_32 3
		.amdhsa_float_denorm_mode_16_64 3
		.amdhsa_dx10_clamp 1
		.amdhsa_ieee_mode 1
		.amdhsa_fp16_overflow 0
		.amdhsa_tg_split 0
		.amdhsa_exception_fp_ieee_invalid_op 0
		.amdhsa_exception_fp_denorm_src 0
		.amdhsa_exception_fp_ieee_div_zero 0
		.amdhsa_exception_fp_ieee_overflow 0
		.amdhsa_exception_fp_ieee_underflow 0
		.amdhsa_exception_fp_ieee_inexact 0
		.amdhsa_exception_int_div_zero 0
	.end_amdhsa_kernel
	.section	.text._ZN2at6native27unrolled_elementwise_kernelIZZZNS0_12_GLOBAL__N_130modified_bessel_k0_kernel_cudaERNS_18TensorIteratorBaseEENKUlvE_clEvENKUlvE0_clEvEUlfE_St5arrayIPcLm2EELi4E23TrivialOffsetCalculatorILi1EjESC_NS0_6memory15LoadWithoutCastENSD_16StoreWithoutCastEEEviT_T0_T2_T3_T4_T5_,"axG",@progbits,_ZN2at6native27unrolled_elementwise_kernelIZZZNS0_12_GLOBAL__N_130modified_bessel_k0_kernel_cudaERNS_18TensorIteratorBaseEENKUlvE_clEvENKUlvE0_clEvEUlfE_St5arrayIPcLm2EELi4E23TrivialOffsetCalculatorILi1EjESC_NS0_6memory15LoadWithoutCastENSD_16StoreWithoutCastEEEviT_T0_T2_T3_T4_T5_,comdat
.Lfunc_end18:
	.size	_ZN2at6native27unrolled_elementwise_kernelIZZZNS0_12_GLOBAL__N_130modified_bessel_k0_kernel_cudaERNS_18TensorIteratorBaseEENKUlvE_clEvENKUlvE0_clEvEUlfE_St5arrayIPcLm2EELi4E23TrivialOffsetCalculatorILi1EjESC_NS0_6memory15LoadWithoutCastENSD_16StoreWithoutCastEEEviT_T0_T2_T3_T4_T5_, .Lfunc_end18-_ZN2at6native27unrolled_elementwise_kernelIZZZNS0_12_GLOBAL__N_130modified_bessel_k0_kernel_cudaERNS_18TensorIteratorBaseEENKUlvE_clEvENKUlvE0_clEvEUlfE_St5arrayIPcLm2EELi4E23TrivialOffsetCalculatorILi1EjESC_NS0_6memory15LoadWithoutCastENSD_16StoreWithoutCastEEEviT_T0_T2_T3_T4_T5_
                                        ; -- End function
	.section	.AMDGPU.csdata,"",@progbits
; Kernel info:
; codeLenInByte = 104
; NumSgprs: 39
; NumVgprs: 32
; NumAgprs: 0
; TotalNumVgprs: 32
; ScratchSize: 0
; MemoryBound: 0
; FloatMode: 240
; IeeeMode: 1
; LDSByteSize: 0 bytes/workgroup (compile time only)
; SGPRBlocks: 4
; VGPRBlocks: 3
; NumSGPRsForWavesPerEU: 39
; NumVGPRsForWavesPerEU: 32
; AccumOffset: 32
; Occupancy: 8
; WaveLimiterHint : 0
; COMPUTE_PGM_RSRC2:SCRATCH_EN: 0
; COMPUTE_PGM_RSRC2:USER_SGPR: 8
; COMPUTE_PGM_RSRC2:TRAP_HANDLER: 0
; COMPUTE_PGM_RSRC2:TGID_X_EN: 1
; COMPUTE_PGM_RSRC2:TGID_Y_EN: 0
; COMPUTE_PGM_RSRC2:TGID_Z_EN: 0
; COMPUTE_PGM_RSRC2:TIDIG_COMP_CNT: 0
; COMPUTE_PGM_RSRC3_GFX90A:ACCUM_OFFSET: 7
; COMPUTE_PGM_RSRC3_GFX90A:TG_SPLIT: 0
	.section	.text._ZN2at6native32elementwise_kernel_manual_unrollILi128ELi4EZNS0_22gpu_kernel_impl_nocastIZZZNS0_12_GLOBAL__N_130modified_bessel_k0_kernel_cudaERNS_18TensorIteratorBaseEENKUlvE_clEvENKUlvE0_clEvEUlfE_EEvS5_RKT_EUlibE_EEviT1_,"axG",@progbits,_ZN2at6native32elementwise_kernel_manual_unrollILi128ELi4EZNS0_22gpu_kernel_impl_nocastIZZZNS0_12_GLOBAL__N_130modified_bessel_k0_kernel_cudaERNS_18TensorIteratorBaseEENKUlvE_clEvENKUlvE0_clEvEUlfE_EEvS5_RKT_EUlibE_EEviT1_,comdat
	.globl	_ZN2at6native32elementwise_kernel_manual_unrollILi128ELi4EZNS0_22gpu_kernel_impl_nocastIZZZNS0_12_GLOBAL__N_130modified_bessel_k0_kernel_cudaERNS_18TensorIteratorBaseEENKUlvE_clEvENKUlvE0_clEvEUlfE_EEvS5_RKT_EUlibE_EEviT1_ ; -- Begin function _ZN2at6native32elementwise_kernel_manual_unrollILi128ELi4EZNS0_22gpu_kernel_impl_nocastIZZZNS0_12_GLOBAL__N_130modified_bessel_k0_kernel_cudaERNS_18TensorIteratorBaseEENKUlvE_clEvENKUlvE0_clEvEUlfE_EEvS5_RKT_EUlibE_EEviT1_
	.p2align	8
	.type	_ZN2at6native32elementwise_kernel_manual_unrollILi128ELi4EZNS0_22gpu_kernel_impl_nocastIZZZNS0_12_GLOBAL__N_130modified_bessel_k0_kernel_cudaERNS_18TensorIteratorBaseEENKUlvE_clEvENKUlvE0_clEvEUlfE_EEvS5_RKT_EUlibE_EEviT1_,@function
_ZN2at6native32elementwise_kernel_manual_unrollILi128ELi4EZNS0_22gpu_kernel_impl_nocastIZZZNS0_12_GLOBAL__N_130modified_bessel_k0_kernel_cudaERNS_18TensorIteratorBaseEENKUlvE_clEvENKUlvE0_clEvEUlfE_EEvS5_RKT_EUlibE_EEviT1_: ; @_ZN2at6native32elementwise_kernel_manual_unrollILi128ELi4EZNS0_22gpu_kernel_impl_nocastIZZZNS0_12_GLOBAL__N_130modified_bessel_k0_kernel_cudaERNS_18TensorIteratorBaseEENKUlvE_clEvENKUlvE0_clEvEUlfE_EEvS5_RKT_EUlibE_EEviT1_
; %bb.0:
	s_load_dword s57, s[4:5], 0x0
	s_load_dword s33, s[4:5], 0x8
	s_or_b32 s4, s4, 8
	v_lshl_or_b32 v6, s6, 9, v0
	v_or_b32_e32 v9, 0x180, v6
	s_waitcnt lgkmcnt(0)
	v_cmp_le_i32_e32 vcc, s57, v9
	s_add_i32 s56, s33, -1
	s_cmp_gt_u32 s56, 1
	s_cselect_b64 s[6:7], -1, 0
	s_and_saveexec_b64 s[0:1], vcc
	s_xor_b64 s[34:35], exec, s[0:1]
	s_cbranch_execz .LBB19_8
; %bb.1:
	s_load_dwordx4 s[36:39], s[4:5], 0x4
	s_load_dwordx2 s[40:41], s[4:5], 0x14
	s_load_dwordx4 s[28:31], s[4:5], 0xc4
	s_load_dwordx4 s[24:27], s[4:5], 0x148
	s_cmp_lg_u32 s33, 0
	s_cselect_b64 s[46:47], -1, 0
	s_add_u32 s44, s4, 0xc4
	s_addc_u32 s45, s5, 0
	s_min_u32 s58, s56, 15
	s_cmp_gt_u32 s33, 1
	s_cselect_b64 s[42:43], -1, 0
	v_cmp_gt_i32_e32 vcc, s57, v6
	s_and_saveexec_b64 s[48:49], vcc
	s_cbranch_execz .LBB19_16
; %bb.2:
	s_andn2_b64 vcc, exec, s[6:7]
	s_cbranch_vccnz .LBB19_24
; %bb.3:
	s_mov_b32 s50, 0
	s_andn2_b64 vcc, exec, s[46:47]
	v_mov_b32_e32 v2, 0
	v_mov_b32_e32 v0, 0
	s_cbranch_vccnz .LBB19_128
; %bb.4:
	s_add_i32 s59, s58, 1
	s_cmp_eq_u32 s56, 2
	s_cbranch_scc1 .LBB19_123
; %bb.5:
	s_and_b32 s50, s59, 28
	s_mov_b32 s51, 0
	v_mov_b32_e32 v0, 0
	s_mov_b64 s[52:53], s[4:5]
	s_mov_b64 s[54:55], s[44:45]
	v_mov_b32_e32 v3, v6
	v_mov_b32_e32 v2, 0
.LBB19_6:                               ; =>This Inner Loop Header: Depth=1
	s_load_dwordx8 s[16:23], s[52:53], 0x4
	s_load_dwordx4 s[0:3], s[52:53], 0x24
	s_load_dwordx8 s[8:15], s[54:55], 0x0
	s_add_u32 s52, s52, 48
	s_addc_u32 s53, s53, 0
	s_waitcnt lgkmcnt(0)
	v_mul_hi_u32 v1, s17, v3
	v_add_u32_e32 v1, v3, v1
	v_lshrrev_b32_e32 v1, s18, v1
	v_mul_lo_u32 v4, v1, s16
	v_mul_hi_u32 v5, s20, v1
	v_sub_u32_e32 v3, v3, v4
	v_add_u32_e32 v4, v1, v5
	v_lshrrev_b32_e32 v4, s21, v4
	v_mul_lo_u32 v7, v4, s19
	v_mul_hi_u32 v8, s23, v4
	v_sub_u32_e32 v1, v1, v7
	v_add_u32_e32 v7, v4, v8
	v_mul_lo_u32 v5, v3, s9
	v_mul_lo_u32 v3, v3, s8
	;; [unrolled: 1-line block ×4, first 2 shown]
	v_lshrrev_b32_e32 v7, s0, v7
	v_add3_u32 v0, v3, v0, v1
	v_mul_hi_u32 v3, s2, v7
	v_add_u32_e32 v3, v7, v3
	v_lshrrev_b32_e32 v3, s3, v3
	s_add_i32 s51, s51, 4
	v_add3_u32 v1, v5, v2, v8
	v_mul_lo_u32 v2, v7, s22
	v_mul_lo_u32 v5, v3, s1
	s_add_u32 s54, s54, 32
	v_sub_u32_e32 v2, v4, v2
	v_sub_u32_e32 v5, v7, v5
	s_addc_u32 s55, s55, 0
	v_mul_lo_u32 v4, v2, s12
	v_mul_lo_u32 v2, v2, s13
	;; [unrolled: 1-line block ×4, first 2 shown]
	s_cmp_lg_u32 s50, s51
	v_add3_u32 v2, v2, v1, v5
	v_add3_u32 v0, v4, v0, v7
	s_cbranch_scc1 .LBB19_6
; %bb.7:
	v_mov_b32_e32 v1, v2
	s_branch .LBB19_124
.LBB19_8:
	s_andn2_saveexec_b64 s[0:1], s[34:35]
	s_cbranch_execz .LBB19_175
.LBB19_9:
	v_cndmask_b32_e64 v0, 0, 1, s[6:7]
	v_cmp_ne_u32_e64 s[0:1], 1, v0
	s_andn2_b64 vcc, exec, s[6:7]
	s_cbranch_vccnz .LBB19_23
; %bb.10:
	s_mov_b32 s2, 0
	s_cmp_lg_u32 s33, 0
	v_mov_b32_e32 v14, 0
	v_mov_b32_e32 v0, 0
	s_cbranch_scc0 .LBB19_15
; %bb.11:
	s_waitcnt lgkmcnt(0)
	s_min_u32 s30, s56, 15
	s_add_i32 s30, s30, 1
	s_cmp_eq_u32 s56, 2
	s_cbranch_scc1 .LBB19_26
; %bb.12:
	s_add_u32 s6, s4, 0xc4
	s_addc_u32 s7, s5, 0
	s_and_b32 s2, s30, 28
	s_mov_b32 s3, 0
	v_mov_b32_e32 v0, 0
	s_mov_b64 s[28:29], s[4:5]
	v_mov_b32_e32 v2, v6
	v_mov_b32_e32 v14, 0
.LBB19_13:                              ; =>This Inner Loop Header: Depth=1
	s_load_dwordx8 s[16:23], s[28:29], 0x4
	s_load_dwordx4 s[24:27], s[28:29], 0x24
	s_load_dwordx8 s[8:15], s[6:7], 0x0
	s_add_u32 s28, s28, 48
	s_addc_u32 s29, s29, 0
	s_waitcnt lgkmcnt(0)
	v_mul_hi_u32 v1, s17, v2
	v_add_u32_e32 v1, v2, v1
	v_lshrrev_b32_e32 v1, s18, v1
	v_mul_lo_u32 v3, v1, s16
	v_mul_hi_u32 v4, s20, v1
	v_sub_u32_e32 v2, v2, v3
	v_add_u32_e32 v3, v1, v4
	v_lshrrev_b32_e32 v3, s21, v3
	v_mul_lo_u32 v5, v3, s19
	v_mul_hi_u32 v7, s23, v3
	v_sub_u32_e32 v1, v1, v5
	v_add_u32_e32 v5, v3, v7
	v_mul_lo_u32 v4, v2, s9
	v_mul_lo_u32 v2, v2, s8
	;; [unrolled: 1-line block ×4, first 2 shown]
	v_lshrrev_b32_e32 v5, s24, v5
	v_add3_u32 v0, v2, v0, v1
	v_add3_u32 v1, v4, v14, v7
	v_mul_lo_u32 v2, v5, s22
	v_mul_hi_u32 v4, s26, v5
	v_sub_u32_e32 v2, v3, v2
	v_add_u32_e32 v3, v5, v4
	v_mul_lo_u32 v4, v2, s12
	v_mul_lo_u32 v7, v2, s13
	v_lshrrev_b32_e32 v2, s27, v3
	s_add_i32 s3, s3, 4
	v_mul_lo_u32 v3, v2, s25
	s_add_u32 s6, s6, 32
	v_sub_u32_e32 v3, v5, v3
	s_addc_u32 s7, s7, 0
	v_mul_lo_u32 v5, v3, s14
	v_mul_lo_u32 v3, v3, s15
	s_cmp_lg_u32 s2, s3
	v_add3_u32 v14, v7, v1, v3
	v_add3_u32 v0, v4, v0, v5
	s_cbranch_scc1 .LBB19_13
; %bb.14:
	v_mov_b32_e32 v1, v14
	s_and_b32 s8, s30, 3
	s_cmp_eq_u32 s8, 0
	s_cbranch_scc0 .LBB19_27
.LBB19_15:
	s_cbranch_execz .LBB19_30
	s_branch .LBB19_32
.LBB19_16:
	s_or_b64 exec, exec, s[48:49]
	v_cmp_gt_i32_e32 vcc, s57, v6
	s_and_saveexec_b64 s[48:49], vcc
	s_cbranch_execz .LBB19_144
.LBB19_17:
	s_andn2_b64 vcc, exec, s[6:7]
	s_cbranch_vccnz .LBB19_25
; %bb.18:
	s_mov_b32 s50, 0
	s_andn2_b64 vcc, exec, s[46:47]
	v_mov_b32_e32 v2, 0
	v_mov_b32_e32 v0, 0
	s_cbranch_vccnz .LBB19_157
; %bb.19:
	s_add_i32 s59, s58, 1
	s_cmp_eq_u32 s56, 2
	s_cbranch_scc1 .LBB19_152
; %bb.20:
	s_and_b32 s50, s59, 28
	s_mov_b32 s51, 0
	v_mov_b32_e32 v0, 0
	s_mov_b64 s[52:53], s[4:5]
	s_mov_b64 s[54:55], s[44:45]
	v_mov_b32_e32 v3, v6
	v_mov_b32_e32 v2, 0
.LBB19_21:                              ; =>This Inner Loop Header: Depth=1
	s_load_dwordx8 s[16:23], s[52:53], 0x4
	s_load_dwordx4 s[0:3], s[52:53], 0x24
	s_load_dwordx8 s[8:15], s[54:55], 0x0
	s_add_u32 s52, s52, 48
	s_addc_u32 s53, s53, 0
	s_waitcnt lgkmcnt(0)
	v_mul_hi_u32 v1, s17, v3
	v_add_u32_e32 v1, v3, v1
	v_lshrrev_b32_e32 v1, s18, v1
	v_mul_lo_u32 v4, v1, s16
	v_mul_hi_u32 v5, s20, v1
	v_sub_u32_e32 v3, v3, v4
	v_add_u32_e32 v4, v1, v5
	v_lshrrev_b32_e32 v4, s21, v4
	v_mul_lo_u32 v7, v4, s19
	v_mul_hi_u32 v8, s23, v4
	v_sub_u32_e32 v1, v1, v7
	v_add_u32_e32 v7, v4, v8
	v_mul_lo_u32 v5, v3, s9
	v_mul_lo_u32 v3, v3, s8
	;; [unrolled: 1-line block ×4, first 2 shown]
	v_lshrrev_b32_e32 v7, s0, v7
	v_add3_u32 v0, v3, v0, v1
	v_mul_hi_u32 v3, s2, v7
	v_add_u32_e32 v3, v7, v3
	v_lshrrev_b32_e32 v3, s3, v3
	s_add_i32 s51, s51, 4
	v_add3_u32 v1, v5, v2, v8
	v_mul_lo_u32 v2, v7, s22
	v_mul_lo_u32 v5, v3, s1
	s_add_u32 s54, s54, 32
	v_sub_u32_e32 v2, v4, v2
	v_sub_u32_e32 v5, v7, v5
	s_addc_u32 s55, s55, 0
	v_mul_lo_u32 v4, v2, s12
	v_mul_lo_u32 v2, v2, s13
	;; [unrolled: 1-line block ×4, first 2 shown]
	s_cmp_eq_u32 s50, s51
	v_add3_u32 v2, v2, v1, v5
	v_add3_u32 v0, v4, v0, v7
	s_cbranch_scc0 .LBB19_21
; %bb.22:
	v_mov_b32_e32 v1, v2
	s_branch .LBB19_153
.LBB19_23:
                                        ; implicit-def: $vgpr14
                                        ; implicit-def: $vgpr0
	s_branch .LBB19_30
.LBB19_24:
                                        ; implicit-def: $vgpr2
                                        ; implicit-def: $vgpr0
	s_branch .LBB19_129
.LBB19_25:
                                        ; implicit-def: $vgpr2
                                        ; implicit-def: $vgpr0
	s_branch .LBB19_158
.LBB19_26:
	s_mov_b32 s3, s2
	v_pk_mov_b32 v[0:1], s[2:3], s[2:3] op_sel:[0,1]
                                        ; implicit-def: $vgpr14
	v_mov_b32_e32 v2, v6
	s_and_b32 s8, s30, 3
	s_cmp_eq_u32 s8, 0
	s_cbranch_scc1 .LBB19_15
.LBB19_27:
	s_lshl_b32 s3, s2, 3
	s_add_u32 s3, s3, s4
	s_addc_u32 s7, 0, s5
	s_add_u32 s6, s3, 0xc4
	s_addc_u32 s7, s7, 0
	s_mul_i32 s2, s2, 12
	s_add_u32 s2, s4, s2
	s_addc_u32 s3, 0, s5
.LBB19_28:                              ; =>This Inner Loop Header: Depth=1
	s_load_dwordx2 s[10:11], s[2:3], 0x4
	s_load_dword s9, s[2:3], 0xc
	s_load_dwordx2 s[12:13], s[6:7], 0x0
	v_mov_b32_e32 v4, v1
	s_add_u32 s2, s2, 12
	s_waitcnt lgkmcnt(0)
	v_mul_hi_u32 v1, s11, v2
	v_add_u32_e32 v1, v2, v1
	v_lshrrev_b32_e32 v1, s9, v1
	s_addc_u32 s3, s3, 0
	v_mul_lo_u32 v3, v1, s10
	s_add_u32 s6, s6, 8
	v_sub_u32_e32 v3, v2, v3
	s_addc_u32 s7, s7, 0
	s_add_i32 s8, s8, -1
	v_mov_b32_e32 v2, v1
	v_mad_u64_u32 v[4:5], s[10:11], v3, s13, v[4:5]
	v_mad_u64_u32 v[0:1], s[10:11], v3, s12, v[0:1]
	s_cmp_lg_u32 s8, 0
	v_mov_b32_e32 v1, v4
	s_cbranch_scc1 .LBB19_28
; %bb.29:
	v_mov_b32_e32 v14, v1
	s_cbranch_execnz .LBB19_32
.LBB19_30:
	s_load_dwordx4 s[8:11], s[4:5], 0x4
	s_load_dwordx2 s[2:3], s[4:5], 0xc4
	s_cmp_lt_u32 s33, 2
	s_waitcnt lgkmcnt(0)
	v_mul_hi_u32 v0, s9, v6
	v_add_u32_e32 v0, v6, v0
	v_lshrrev_b32_e32 v1, s10, v0
	v_mul_lo_u32 v0, v1, s8
	v_sub_u32_e32 v0, v6, v0
	v_mul_lo_u32 v14, v0, s3
	v_mul_lo_u32 v0, v0, s2
	s_cbranch_scc1 .LBB19_32
; %bb.31:
	s_load_dwordx4 s[8:11], s[4:5], 0x10
	s_load_dwordx2 s[2:3], s[4:5], 0xcc
	s_waitcnt lgkmcnt(0)
	v_mul_hi_u32 v2, s9, v1
	v_add_u32_e32 v2, v1, v2
	v_lshrrev_b32_e32 v2, s10, v2
	v_mul_lo_u32 v2, v2, s8
	v_sub_u32_e32 v2, v1, v2
	v_mad_u64_u32 v[0:1], s[6:7], v2, s2, v[0:1]
	v_mad_u64_u32 v[14:15], s[2:3], v2, s3, v[14:15]
.LBB19_32:
	s_and_b64 vcc, exec, s[0:1]
	v_add_u32_e32 v1, 0x80, v6
	s_cbranch_vccnz .LBB19_39
; %bb.33:
	s_mov_b32 s2, 0
	s_cmp_lg_u32 s33, 0
	v_mov_b32_e32 v12, 0
	v_mov_b32_e32 v2, 0
	s_cbranch_scc0 .LBB19_38
; %bb.34:
	s_waitcnt lgkmcnt(0)
	s_min_u32 s30, s56, 15
	s_add_i32 s30, s30, 1
	s_cmp_eq_u32 s56, 2
	s_cbranch_scc1 .LBB19_40
; %bb.35:
	s_add_u32 s6, s4, 0xc4
	s_addc_u32 s7, s5, 0
	s_and_b32 s2, s30, 28
	s_mov_b32 s3, 0
	v_mov_b32_e32 v2, 0
	s_mov_b64 s[28:29], s[4:5]
	v_mov_b32_e32 v4, v1
	v_mov_b32_e32 v12, 0
.LBB19_36:                              ; =>This Inner Loop Header: Depth=1
	s_load_dwordx8 s[16:23], s[28:29], 0x4
	s_load_dwordx4 s[24:27], s[28:29], 0x24
	s_load_dwordx8 s[8:15], s[6:7], 0x0
	s_add_u32 s28, s28, 48
	s_addc_u32 s29, s29, 0
	s_waitcnt lgkmcnt(0)
	v_mul_hi_u32 v3, s17, v4
	v_add_u32_e32 v3, v4, v3
	v_lshrrev_b32_e32 v3, s18, v3
	v_mul_lo_u32 v5, v3, s16
	v_mul_hi_u32 v7, s20, v3
	v_sub_u32_e32 v4, v4, v5
	v_add_u32_e32 v5, v3, v7
	v_lshrrev_b32_e32 v5, s21, v5
	v_mul_lo_u32 v8, v5, s19
	v_mul_hi_u32 v10, s23, v5
	v_sub_u32_e32 v3, v3, v8
	v_add_u32_e32 v8, v5, v10
	v_mul_lo_u32 v7, v4, s9
	v_mul_lo_u32 v4, v4, s8
	;; [unrolled: 1-line block ×4, first 2 shown]
	v_lshrrev_b32_e32 v8, s24, v8
	v_add3_u32 v2, v4, v2, v3
	v_add3_u32 v3, v7, v12, v10
	v_mul_lo_u32 v4, v8, s22
	v_mul_hi_u32 v7, s26, v8
	v_sub_u32_e32 v4, v5, v4
	v_add_u32_e32 v5, v8, v7
	v_mul_lo_u32 v7, v4, s12
	v_mul_lo_u32 v10, v4, s13
	v_lshrrev_b32_e32 v4, s27, v5
	s_add_i32 s3, s3, 4
	v_mul_lo_u32 v5, v4, s25
	s_add_u32 s6, s6, 32
	v_sub_u32_e32 v5, v8, v5
	s_addc_u32 s7, s7, 0
	v_mul_lo_u32 v8, v5, s14
	v_mul_lo_u32 v5, v5, s15
	s_cmp_lg_u32 s2, s3
	v_add3_u32 v12, v10, v3, v5
	v_add3_u32 v2, v7, v2, v8
	s_cbranch_scc1 .LBB19_36
; %bb.37:
	v_mov_b32_e32 v3, v12
	s_and_b32 s8, s30, 3
	s_cmp_eq_u32 s8, 0
	s_cbranch_scc0 .LBB19_41
.LBB19_38:
	s_cbranch_execz .LBB19_44
	s_branch .LBB19_46
.LBB19_39:
                                        ; implicit-def: $vgpr12
                                        ; implicit-def: $vgpr2
	s_branch .LBB19_44
.LBB19_40:
	s_mov_b32 s3, s2
	v_pk_mov_b32 v[2:3], s[2:3], s[2:3] op_sel:[0,1]
                                        ; implicit-def: $vgpr12
	v_mov_b32_e32 v4, v1
	s_and_b32 s8, s30, 3
	s_cmp_eq_u32 s8, 0
	s_cbranch_scc1 .LBB19_38
.LBB19_41:
	s_lshl_b32 s3, s2, 3
	s_add_u32 s3, s3, s4
	s_addc_u32 s7, 0, s5
	s_add_u32 s6, s3, 0xc4
	s_addc_u32 s7, s7, 0
	s_mul_i32 s2, s2, 12
	s_add_u32 s2, s4, s2
	s_addc_u32 s3, 0, s5
.LBB19_42:                              ; =>This Inner Loop Header: Depth=1
	s_load_dwordx2 s[10:11], s[2:3], 0x4
	s_load_dword s9, s[2:3], 0xc
	s_load_dwordx2 s[12:13], s[6:7], 0x0
	v_mov_b32_e32 v8, v3
	s_add_u32 s2, s2, 12
	s_waitcnt lgkmcnt(0)
	v_mul_hi_u32 v3, s11, v4
	v_add_u32_e32 v3, v4, v3
	v_lshrrev_b32_e32 v3, s9, v3
	s_addc_u32 s3, s3, 0
	v_mul_lo_u32 v5, v3, s10
	s_add_u32 s6, s6, 8
	v_sub_u32_e32 v5, v4, v5
	s_addc_u32 s7, s7, 0
	s_add_i32 s8, s8, -1
	v_mov_b32_e32 v4, v3
	v_mad_u64_u32 v[10:11], s[10:11], v5, s13, v[8:9]
	v_mad_u64_u32 v[2:3], s[10:11], v5, s12, v[2:3]
	s_cmp_lg_u32 s8, 0
	v_mov_b32_e32 v3, v10
	s_cbranch_scc1 .LBB19_42
; %bb.43:
	v_mov_b32_e32 v12, v3
	s_cbranch_execnz .LBB19_46
.LBB19_44:
	s_load_dwordx4 s[8:11], s[4:5], 0x4
	s_load_dwordx2 s[2:3], s[4:5], 0xc4
	s_cmp_lt_u32 s33, 2
	s_waitcnt lgkmcnt(0)
	v_mul_hi_u32 v2, s9, v1
	v_add_u32_e32 v2, v1, v2
	v_lshrrev_b32_e32 v3, s10, v2
	v_mul_lo_u32 v2, v3, s8
	v_sub_u32_e32 v1, v1, v2
	v_mul_lo_u32 v12, v1, s3
	v_mul_lo_u32 v2, v1, s2
	s_cbranch_scc1 .LBB19_46
; %bb.45:
	s_load_dwordx4 s[8:11], s[4:5], 0x10
	s_load_dwordx2 s[2:3], s[4:5], 0xcc
	s_waitcnt lgkmcnt(0)
	v_mul_hi_u32 v1, s9, v3
	v_add_u32_e32 v1, v3, v1
	v_lshrrev_b32_e32 v1, s10, v1
	v_mul_lo_u32 v1, v1, s8
	v_sub_u32_e32 v1, v3, v1
	v_mad_u64_u32 v[2:3], s[6:7], v1, s2, v[2:3]
	v_mad_u64_u32 v[12:13], s[2:3], v1, s3, v[12:13]
.LBB19_46:
	s_and_b64 vcc, exec, s[0:1]
	v_add_u32_e32 v1, 0x100, v6
	s_cbranch_vccnz .LBB19_53
; %bb.47:
	s_mov_b32 s2, 0
	s_cmp_lg_u32 s33, 0
	v_mov_b32_e32 v10, 0
	v_mov_b32_e32 v4, 0
	s_cbranch_scc0 .LBB19_52
; %bb.48:
	s_waitcnt lgkmcnt(0)
	s_min_u32 s30, s56, 15
	s_add_i32 s30, s30, 1
	s_cmp_eq_u32 s56, 2
	s_cbranch_scc1 .LBB19_54
; %bb.49:
	s_add_u32 s6, s4, 0xc4
	s_addc_u32 s7, s5, 0
	s_and_b32 s2, s30, 28
	s_mov_b32 s3, 0
	v_mov_b32_e32 v4, 0
	s_mov_b64 s[28:29], s[4:5]
	v_mov_b32_e32 v3, v1
	v_mov_b32_e32 v10, 0
.LBB19_50:                              ; =>This Inner Loop Header: Depth=1
	s_load_dwordx8 s[16:23], s[28:29], 0x4
	s_load_dwordx4 s[24:27], s[28:29], 0x24
	s_load_dwordx8 s[8:15], s[6:7], 0x0
	s_add_u32 s28, s28, 48
	s_addc_u32 s29, s29, 0
	s_waitcnt lgkmcnt(0)
	v_mul_hi_u32 v5, s17, v3
	v_add_u32_e32 v5, v3, v5
	v_lshrrev_b32_e32 v5, s18, v5
	v_mul_lo_u32 v6, v5, s16
	v_mul_hi_u32 v7, s20, v5
	v_sub_u32_e32 v3, v3, v6
	v_add_u32_e32 v6, v5, v7
	v_lshrrev_b32_e32 v6, s21, v6
	v_mul_lo_u32 v8, v6, s19
	v_mul_hi_u32 v11, s23, v6
	v_sub_u32_e32 v5, v5, v8
	v_add_u32_e32 v8, v6, v11
	v_mul_lo_u32 v7, v3, s9
	v_mul_lo_u32 v3, v3, s8
	;; [unrolled: 1-line block ×4, first 2 shown]
	v_lshrrev_b32_e32 v8, s24, v8
	v_add3_u32 v4, v3, v4, v5
	v_add3_u32 v5, v7, v10, v11
	v_mul_lo_u32 v3, v8, s22
	v_mul_hi_u32 v7, s26, v8
	v_sub_u32_e32 v3, v6, v3
	v_add_u32_e32 v6, v8, v7
	v_mul_lo_u32 v7, v3, s12
	v_mul_lo_u32 v10, v3, s13
	v_lshrrev_b32_e32 v3, s27, v6
	s_add_i32 s3, s3, 4
	v_mul_lo_u32 v6, v3, s25
	s_add_u32 s6, s6, 32
	v_sub_u32_e32 v6, v8, v6
	s_addc_u32 s7, s7, 0
	v_mul_lo_u32 v8, v6, s14
	v_mul_lo_u32 v6, v6, s15
	s_cmp_lg_u32 s2, s3
	v_add3_u32 v10, v10, v5, v6
	v_add3_u32 v4, v7, v4, v8
	s_cbranch_scc1 .LBB19_50
; %bb.51:
	v_mov_b32_e32 v5, v10
	s_and_b32 s8, s30, 3
	s_cmp_eq_u32 s8, 0
	s_cbranch_scc0 .LBB19_55
.LBB19_52:
	s_cbranch_execz .LBB19_58
	s_branch .LBB19_60
.LBB19_53:
                                        ; implicit-def: $vgpr10
                                        ; implicit-def: $vgpr4
	s_branch .LBB19_58
.LBB19_54:
	s_mov_b32 s3, s2
	v_pk_mov_b32 v[4:5], s[2:3], s[2:3] op_sel:[0,1]
                                        ; implicit-def: $vgpr10
	v_mov_b32_e32 v3, v1
	s_and_b32 s8, s30, 3
	s_cmp_eq_u32 s8, 0
	s_cbranch_scc1 .LBB19_52
.LBB19_55:
	s_lshl_b32 s3, s2, 3
	s_add_u32 s3, s3, s4
	s_addc_u32 s7, 0, s5
	s_add_u32 s6, s3, 0xc4
	s_addc_u32 s7, s7, 0
	s_mul_i32 s2, s2, 12
	s_add_u32 s2, s4, s2
	s_addc_u32 s3, 0, s5
.LBB19_56:                              ; =>This Inner Loop Header: Depth=1
	s_load_dwordx2 s[10:11], s[2:3], 0x4
	s_load_dword s9, s[2:3], 0xc
	s_load_dwordx2 s[12:13], s[6:7], 0x0
	v_mov_b32_e32 v6, v5
	s_add_u32 s2, s2, 12
	s_waitcnt lgkmcnt(0)
	v_mul_hi_u32 v5, s11, v3
	v_add_u32_e32 v5, v3, v5
	v_lshrrev_b32_e32 v5, s9, v5
	s_addc_u32 s3, s3, 0
	v_mul_lo_u32 v7, v5, s10
	s_add_u32 s6, s6, 8
	v_sub_u32_e32 v8, v3, v7
	s_addc_u32 s7, s7, 0
	s_add_i32 s8, s8, -1
	v_mov_b32_e32 v3, v5
	v_mad_u64_u32 v[6:7], s[10:11], v8, s13, v[6:7]
	v_mad_u64_u32 v[4:5], s[10:11], v8, s12, v[4:5]
	s_cmp_lg_u32 s8, 0
	v_mov_b32_e32 v5, v6
	s_cbranch_scc1 .LBB19_56
; %bb.57:
	v_mov_b32_e32 v10, v5
	s_cbranch_execnz .LBB19_60
.LBB19_58:
	s_load_dwordx4 s[8:11], s[4:5], 0x4
	s_load_dwordx2 s[2:3], s[4:5], 0xc4
	s_cmp_lt_u32 s33, 2
	s_waitcnt lgkmcnt(0)
	v_mul_hi_u32 v3, s9, v1
	v_add_u32_e32 v3, v1, v3
	v_lshrrev_b32_e32 v3, s10, v3
	v_mul_lo_u32 v4, v3, s8
	v_sub_u32_e32 v1, v1, v4
	v_mul_lo_u32 v10, v1, s3
	v_mul_lo_u32 v4, v1, s2
	s_cbranch_scc1 .LBB19_60
; %bb.59:
	s_load_dwordx4 s[8:11], s[4:5], 0x10
	s_load_dwordx2 s[2:3], s[4:5], 0xcc
	s_waitcnt lgkmcnt(0)
	v_mul_hi_u32 v1, s9, v3
	v_add_u32_e32 v1, v3, v1
	v_lshrrev_b32_e32 v1, s10, v1
	v_mul_lo_u32 v1, v1, s8
	v_sub_u32_e32 v1, v3, v1
	v_mad_u64_u32 v[4:5], s[6:7], v1, s2, v[4:5]
	v_mad_u64_u32 v[10:11], s[2:3], v1, s3, v[10:11]
.LBB19_60:
	s_and_b64 vcc, exec, s[0:1]
	s_cbranch_vccnz .LBB19_67
; %bb.61:
	s_mov_b32 s6, 0
	s_cmp_lg_u32 s33, 0
	v_mov_b32_e32 v8, 0
	v_mov_b32_e32 v6, 0
	s_cbranch_scc0 .LBB19_66
; %bb.62:
	s_waitcnt lgkmcnt(0)
	s_min_u32 s28, s56, 15
	s_add_i32 s28, s28, 1
	s_cmp_eq_u32 s56, 2
	s_cbranch_scc1 .LBB19_68
; %bb.63:
	s_add_u32 s24, s4, 0xc4
	s_addc_u32 s25, s5, 0
	s_and_b32 s6, s28, 28
	s_mov_b32 s7, 0
	v_mov_b32_e32 v6, 0
	s_mov_b64 s[26:27], s[4:5]
	v_mov_b32_e32 v1, v9
	v_mov_b32_e32 v8, 0
.LBB19_64:                              ; =>This Inner Loop Header: Depth=1
	s_load_dwordx8 s[16:23], s[26:27], 0x4
	s_load_dwordx4 s[0:3], s[26:27], 0x24
	s_load_dwordx8 s[8:15], s[24:25], 0x0
	s_add_u32 s26, s26, 48
	s_addc_u32 s27, s27, 0
	s_waitcnt lgkmcnt(0)
	v_mul_hi_u32 v3, s17, v1
	v_add_u32_e32 v3, v1, v3
	v_lshrrev_b32_e32 v3, s18, v3
	v_mul_lo_u32 v5, v3, s16
	v_mul_hi_u32 v7, s20, v3
	v_sub_u32_e32 v1, v1, v5
	v_add_u32_e32 v5, v3, v7
	v_lshrrev_b32_e32 v5, s21, v5
	v_mul_lo_u32 v11, v5, s19
	v_mul_hi_u32 v13, s23, v5
	v_sub_u32_e32 v3, v3, v11
	v_add_u32_e32 v11, v5, v13
	v_mul_lo_u32 v7, v1, s9
	v_mul_lo_u32 v1, v1, s8
	;; [unrolled: 1-line block ×4, first 2 shown]
	v_lshrrev_b32_e32 v11, s0, v11
	v_add3_u32 v3, v1, v6, v3
	v_add3_u32 v6, v7, v8, v13
	v_mul_lo_u32 v1, v11, s22
	v_mul_hi_u32 v7, s2, v11
	v_sub_u32_e32 v1, v5, v1
	v_add_u32_e32 v5, v11, v7
	v_mul_lo_u32 v7, v1, s12
	v_mul_lo_u32 v8, v1, s13
	v_lshrrev_b32_e32 v1, s3, v5
	s_add_i32 s7, s7, 4
	v_mul_lo_u32 v5, v1, s1
	s_add_u32 s24, s24, 32
	v_sub_u32_e32 v5, v11, v5
	s_addc_u32 s25, s25, 0
	v_mul_lo_u32 v11, v5, s14
	v_mul_lo_u32 v5, v5, s15
	s_cmp_lg_u32 s6, s7
	v_add3_u32 v8, v8, v6, v5
	v_add3_u32 v6, v7, v3, v11
	s_cbranch_scc1 .LBB19_64
; %bb.65:
	v_mov_b32_e32 v7, v8
	s_and_b32 s7, s28, 3
	s_cmp_eq_u32 s7, 0
	s_cbranch_scc0 .LBB19_69
.LBB19_66:
	s_cbranch_execz .LBB19_72
	s_branch .LBB19_74
.LBB19_67:
                                        ; implicit-def: $vgpr8
                                        ; implicit-def: $vgpr6
	s_branch .LBB19_72
.LBB19_68:
	s_mov_b32 s7, s6
	v_pk_mov_b32 v[6:7], s[6:7], s[6:7] op_sel:[0,1]
                                        ; implicit-def: $vgpr8
	v_mov_b32_e32 v1, v9
	s_and_b32 s7, s28, 3
	s_cmp_eq_u32 s7, 0
	s_cbranch_scc1 .LBB19_66
.LBB19_69:
	s_lshl_b32 s0, s6, 3
	s_add_u32 s0, s0, s4
	s_addc_u32 s1, 0, s5
	s_add_u32 s0, s0, 0xc4
	s_addc_u32 s1, s1, 0
	s_mul_i32 s2, s6, 12
	s_add_u32 s2, s4, s2
	s_addc_u32 s3, 0, s5
.LBB19_70:                              ; =>This Inner Loop Header: Depth=1
	s_load_dwordx2 s[8:9], s[2:3], 0x4
	s_load_dword s6, s[2:3], 0xc
	s_load_dwordx2 s[10:11], s[0:1], 0x0
	s_add_u32 s2, s2, 12
	s_addc_u32 s3, s3, 0
	s_waitcnt lgkmcnt(0)
	v_mul_hi_u32 v3, s9, v1
	v_add_u32_e32 v3, v1, v3
	v_lshrrev_b32_e32 v3, s6, v3
	v_mul_lo_u32 v5, v3, s8
	v_mov_b32_e32 v8, v7
	s_add_u32 s0, s0, 8
	v_sub_u32_e32 v5, v1, v5
	s_addc_u32 s1, s1, 0
	s_add_i32 s7, s7, -1
	v_mad_u64_u32 v[16:17], s[8:9], v5, s11, v[8:9]
	v_mad_u64_u32 v[6:7], s[8:9], v5, s10, v[6:7]
	s_cmp_lg_u32 s7, 0
	v_mov_b32_e32 v1, v3
	v_mov_b32_e32 v7, v16
	s_cbranch_scc1 .LBB19_70
; %bb.71:
	v_mov_b32_e32 v8, v7
	s_cbranch_execnz .LBB19_74
.LBB19_72:
	s_load_dwordx4 s[0:3], s[4:5], 0x4
	s_load_dwordx2 s[6:7], s[4:5], 0xc4
	s_cmp_lt_u32 s33, 2
	s_waitcnt lgkmcnt(0)
	v_mul_hi_u32 v1, s1, v9
	v_add_u32_e32 v1, v9, v1
	v_lshrrev_b32_e32 v1, s2, v1
	v_mul_lo_u32 v3, v1, s0
	v_sub_u32_e32 v3, v9, v3
	v_mul_lo_u32 v8, v3, s7
	v_mul_lo_u32 v6, v3, s6
	s_cbranch_scc1 .LBB19_74
; %bb.73:
	s_load_dwordx4 s[0:3], s[4:5], 0x10
	s_load_dwordx2 s[6:7], s[4:5], 0xcc
	s_waitcnt lgkmcnt(0)
	v_mul_hi_u32 v3, s1, v1
	v_add_u32_e32 v3, v1, v3
	v_lshrrev_b32_e32 v3, s2, v3
	v_mul_lo_u32 v3, v3, s0
	v_sub_u32_e32 v1, v1, v3
	v_mad_u64_u32 v[6:7], s[0:1], v1, s6, v[6:7]
	v_mad_u64_u32 v[8:9], s[0:1], v1, s7, v[8:9]
.LBB19_74:
	s_load_dwordx4 s[4:7], s[4:5], 0x148
	v_mov_b32_e32 v1, 0x7f800000
	v_mov_b32_e32 v3, 0x7f800000
	s_waitcnt lgkmcnt(0)
	global_load_dword v5, v14, s[6:7]
	s_waitcnt vmcnt(0)
	v_cmp_neq_f32_e32 vcc, 0, v5
	s_and_saveexec_b64 s[2:3], vcc
	s_cbranch_execz .LBB19_86
; %bb.75:
	v_cmp_ngt_f32_e32 vcc, 0, v5
	v_mov_b32_e32 v3, 0x7fc00000
	s_and_saveexec_b64 s[8:9], vcc
	s_cbranch_execz .LBB19_85
; %bb.76:
	v_cmp_ge_f32_e32 vcc, 2.0, v5
                                        ; implicit-def: $vgpr3
	s_and_saveexec_b64 s[0:1], vcc
	s_xor_b64 s[10:11], exec, s[0:1]
	s_cbranch_execz .LBB19_82
; %bb.77:
	s_mov_b32 s0, 0x41000000
	v_cmp_ge_f32_e32 vcc, s0, v5
                                        ; implicit-def: $vgpr3
	s_and_saveexec_b64 s[0:1], vcc
	s_xor_b64 s[0:1], exec, s[0:1]
	s_cbranch_execz .LBB19_79
; %bb.78:
	v_fma_f32 v3, v5, 0.5, -2.0
	v_mov_b32_e32 v7, 0x24199b15
	v_fmac_f32_e32 v7, 0xa2a2e5b9, v3
	v_mov_b32_e32 v9, 0x22a2e5b9
	v_fmac_f32_e32 v9, v3, v7
	v_add_f32_e32 v9, 0xa58c275c, v9
	v_fma_f32 v7, v3, v9, -v7
	v_add_f32_e32 v7, 0x26f736c5, v7
	v_fma_f32 v9, v3, v7, -v9
	;; [unrolled: 2-line block ×23, first 2 shown]
	v_mul_f32_e32 v11, 0x3fb8aa3b, v5
	v_add_f32_e32 v7, 0x3d49f456, v7
	s_mov_b32 s12, 0x3fb8aa3b
	v_rndne_f32_e32 v13, v11
	v_fma_f32 v9, v3, v7, -v9
	v_sub_f32_e32 v14, v11, v13
	v_fma_f32 v11, v5, s12, -v11
	v_add_f32_e32 v9, 0xbdc25b82, v9
	v_fmac_f32_e32 v11, 0x32a5705f, v5
	v_fma_f32 v7, v3, v9, -v7
	v_add_f32_e32 v11, v14, v11
	v_add_f32_e32 v7, 0x3e2fbd64, v7
	v_exp_f32_e32 v11, v11
	v_cvt_i32_f32_e32 v13, v13
	v_fma_f32 v9, v3, v7, -v9
	v_add_f32_e32 v9, 0xbe9bff5e, v9
	v_fma_f32 v3, v3, v9, -v7
	s_mov_b32 s12, 0xc2ce8ed0
	v_add_f32_e32 v3, 0x3f2d4275, v3
	v_ldexp_f32 v9, v11, v13
	v_cmp_ngt_f32_e32 vcc, s12, v5
	s_mov_b32 s12, 0x42b17218
	v_cndmask_b32_e32 v9, 0, v9, vcc
	v_mov_b32_e32 v11, 0x7f800000
	v_cmp_nlt_f32_e32 vcc, s12, v5
	v_sub_f32_e32 v3, v3, v7
	v_cndmask_b32_e32 v9, v11, v9, vcc
	v_mul_f32_e32 v3, 0.5, v3
	v_mul_f32_e32 v3, v9, v3
.LBB19_79:
	s_andn2_saveexec_b64 s[12:13], s[0:1]
	s_cbranch_execz .LBB19_81
; %bb.80:
	s_mov_b32 s14, 0x42000000
	v_div_scale_f32 v3, s[0:1], v5, v5, s14
	v_rcp_f32_e32 v7, v3
	v_div_scale_f32 v9, vcc, s14, v5, s14
	s_mov_b32 s0, 0x3fb8aa3b
	v_fma_f32 v11, -v3, v7, 1.0
	v_fmac_f32_e32 v7, v11, v7
	v_mul_f32_e32 v11, v9, v7
	v_fma_f32 v13, -v3, v11, v9
	v_fmac_f32_e32 v11, v13, v7
	v_fma_f32 v3, -v3, v11, v9
	v_div_fmas_f32 v3, v3, v7, v11
	v_div_fixup_f32 v3, v3, v5, s14
	v_add_f32_e32 v3, -2.0, v3
	v_mov_b32_e32 v7, 0xa2b236d3
	v_fmac_f32_e32 v7, 0xa3056dbb, v3
	v_mov_b32_e32 v9, 0x23056dbb
	v_fmac_f32_e32 v9, v3, v7
	v_add_f32_e32 v9, 0x244df0c1, v9
	v_fma_f32 v7, v3, v9, -v7
	v_add_f32_e32 v7, 0x241f9ee8, v7
	v_fma_f32 v9, v3, v7, -v9
	;; [unrolled: 2-line block ×17, first 2 shown]
	v_add_f32_e32 v7, 0x32c2b494, v7
	v_mul_f32_e32 v11, 0x3fb8aa3b, v5
	v_fma_f32 v9, v3, v7, -v9
	v_rndne_f32_e32 v13, v11
	v_add_f32_e32 v9, 0x345c003f, v9
	v_sub_f32_e32 v14, v11, v13
	v_fma_f32 v11, v5, s0, -v11
	v_fma_f32 v7, v3, v9, -v7
	v_fmac_f32_e32 v11, 0x32a5705f, v5
	v_add_f32_e32 v7, 0x3642095e, v7
	v_add_f32_e32 v11, v14, v11
	v_fma_f32 v9, v3, v7, -v9
	v_exp_f32_e32 v11, v11
	v_cvt_i32_f32_e32 v13, v13
	v_add_f32_e32 v9, 0x38907d1c, v9
	v_fma_f32 v7, v3, v9, -v7
	v_add_f32_e32 v7, 0x3b5ccc65, v7
	s_mov_b32 s0, 0xc2ce8ed0
	v_fma_f32 v3, v3, v7, -v9
	v_ldexp_f32 v7, v11, v13
	v_cmp_ngt_f32_e32 vcc, s0, v5
	s_mov_b32 s0, 0x42b17218
	v_cndmask_b32_e32 v7, 0, v7, vcc
	v_mov_b32_e32 v11, 0x7f800000
	v_cmp_nlt_f32_e32 vcc, s0, v5
	s_mov_b32 s0, 0xf800000
	v_cndmask_b32_e32 v7, v11, v7, vcc
	v_mul_f32_e32 v11, 0x4f800000, v5
	v_cmp_gt_f32_e32 vcc, s0, v5
	v_cndmask_b32_e32 v11, v5, v11, vcc
	v_sqrt_f32_e32 v13, v11
	v_add_f32_e32 v3, 0x3f4df315, v3
	v_sub_f32_e32 v3, v3, v9
	v_mul_f32_e32 v3, 0.5, v3
	v_mul_f32_e32 v3, v7, v3
	v_add_u32_e32 v7, -1, v13
	v_fma_f32 v9, -v7, v13, v11
	v_cmp_ge_f32_e64 s[0:1], 0, v9
	v_add_u32_e32 v9, 1, v13
	v_cndmask_b32_e64 v7, v13, v7, s[0:1]
	v_fma_f32 v13, -v9, v13, v11
	v_cmp_lt_f32_e64 s[0:1], 0, v13
	v_cndmask_b32_e64 v7, v7, v9, s[0:1]
	v_mul_f32_e32 v9, 0x37800000, v7
	v_cndmask_b32_e32 v7, v7, v9, vcc
	v_mov_b32_e32 v9, 0x260
	v_cmp_class_f32_e32 vcc, v11, v9
	v_cndmask_b32_e32 v7, v7, v11, vcc
	v_div_scale_f32 v9, s[0:1], v7, v7, v3
	v_rcp_f32_e32 v11, v9
	v_fma_f32 v13, -v9, v11, 1.0
	v_fmac_f32_e32 v11, v13, v11
	v_div_scale_f32 v13, vcc, v3, v7, v3
	v_mul_f32_e32 v14, v13, v11
	v_fma_f32 v15, -v9, v14, v13
	v_fmac_f32_e32 v14, v15, v11
	v_fma_f32 v9, -v9, v14, v13
	v_div_fmas_f32 v9, v9, v11, v14
	v_div_fixup_f32 v3, v9, v7, v3
.LBB19_81:
	s_or_b64 exec, exec, s[12:13]
	v_fma_f32 v7, v5, v5, -2.0
	v_mov_b32_e32 v9, 0x293fd856
	v_fmac_f32_e32 v9, 0x251e770f, v7
	v_mov_b32_e32 v11, 0xa51e770f
	v_fmac_f32_e32 v11, v7, v9
	v_add_f32_e32 v11, 0x2d3612e2, v11
	v_fma_f32 v9, v7, v11, -v9
	v_add_f32_e32 v9, 0x3102e09b, v9
	v_fma_f32 v11, v7, v9, -v11
	;; [unrolled: 2-line block ×7, first 2 shown]
	v_add_f32_e32 v7, 0xbf090b37, v7
	v_cvt_f64_f32_e32 v[16:17], v5
	v_sub_f32_e32 v7, v7, v9
	v_mul_f64 v[16:17], v[16:17], 0.5
	s_mov_b32 s0, 0x55555555
	v_mul_f32_e32 v7, 0.5, v7
	v_frexp_mant_f64_e32 v[18:19], v[16:17]
	s_mov_b32 s1, 0x3fe55555
	v_cvt_f64_f32_e32 v[14:15], v7
	v_mov_b32_e32 v7, 0x3ff00000
	v_cmp_gt_f64_e32 vcc, s[0:1], v[18:19]
	v_cndmask_b32_e64 v21, v7, 2.0, vcc
	v_mov_b32_e32 v20, 0
	v_mul_f64 v[18:19], v[18:19], v[20:21]
	v_add_f64 v[20:21], v[18:19], 1.0
	v_rcp_f64_e32 v[22:23], v[20:21]
	v_add_f64 v[26:27], v[20:21], -1.0
	v_add_f64 v[24:25], v[18:19], -1.0
	v_add_f64 v[18:19], v[18:19], -v[26:27]
	v_fma_f64 v[26:27], -v[20:21], v[22:23], 1.0
	v_fmac_f64_e32 v[22:23], v[26:27], v[22:23]
	v_fma_f64 v[26:27], -v[20:21], v[22:23], 1.0
	v_fmac_f64_e32 v[22:23], v[26:27], v[22:23]
	v_mul_f64 v[26:27], v[24:25], v[22:23]
	v_mul_f64 v[28:29], v[20:21], v[26:27]
	v_fma_f64 v[20:21], v[26:27], v[20:21], -v[28:29]
	v_fmac_f64_e32 v[20:21], v[26:27], v[18:19]
	v_add_f64 v[18:19], v[28:29], v[20:21]
	v_add_f64 v[30:31], v[24:25], -v[18:19]
	v_add_f64 v[28:29], v[18:19], -v[28:29]
	v_add_f64 v[24:25], v[24:25], -v[30:31]
	v_add_f64 v[18:19], v[24:25], -v[18:19]
	v_add_f64 v[20:21], v[28:29], -v[20:21]
	v_add_f64 v[18:19], v[20:21], v[18:19]
	v_add_f64 v[18:19], v[30:31], v[18:19]
	v_mul_f64 v[18:19], v[22:23], v[18:19]
	v_add_f64 v[20:21], v[26:27], v[18:19]
	v_add_f64 v[22:23], v[20:21], -v[26:27]
	s_mov_b32 s0, 0xbf559e2b
	v_add_f64 v[18:19], v[18:19], -v[22:23]
	v_mul_f64 v[22:23], v[20:21], v[20:21]
	v_mov_b32_e32 v24, 0x6b47b09a
	v_mov_b32_e32 v25, 0x3fc38538
	s_mov_b32 s1, 0x3fc3ab76
	v_fmac_f64_e32 v[24:25], s[0:1], v[22:23]
	v_mov_b32_e32 v26, 0xd7f4df2e
	v_mov_b32_e32 v27, 0x3fc7474d
	v_fmac_f64_e32 v[26:27], v[22:23], v[24:25]
	v_mov_b32_e32 v24, 0x16291751
	v_mov_b32_e32 v25, 0x3fcc71c0
	;; [unrolled: 3-line block ×5, first 2 shown]
	v_fmac_f64_e32 v[26:27], v[22:23], v[24:25]
	v_ldexp_f64 v[24:25], v[20:21], 1
	v_mul_f64 v[20:21], v[20:21], v[22:23]
	v_mul_f64 v[20:21], v[20:21], v[26:27]
	v_add_f64 v[22:23], v[24:25], v[20:21]
	v_add_f64 v[24:25], v[22:23], -v[24:25]
	v_ldexp_f64 v[18:19], v[18:19], 1
	v_add_f64 v[20:21], v[20:21], -v[24:25]
	v_add_f64 v[18:19], v[18:19], v[20:21]
	v_frexp_exp_i32_f64_e32 v5, v[16:17]
	v_add_f64 v[20:21], v[22:23], v[18:19]
	v_subbrev_co_u32_e32 v5, vcc, 0, v5, vcc
	v_add_f64 v[22:23], v[20:21], -v[22:23]
	s_mov_b32 s0, 0xfefa39ef
	v_add_f64 v[18:19], v[18:19], -v[22:23]
	v_cvt_f64_i32_e32 v[22:23], v5
	s_mov_b32 s1, 0x3fe62e42
	v_mul_f64 v[24:25], v[22:23], s[0:1]
	v_fma_f64 v[26:27], v[22:23], s[0:1], -v[24:25]
	s_mov_b32 s0, 0x3b39803f
	s_mov_b32 s1, 0x3c7abc9e
	v_fmac_f64_e32 v[26:27], s[0:1], v[22:23]
	v_add_f64 v[22:23], v[24:25], v[26:27]
	v_add_f64 v[24:25], v[22:23], -v[24:25]
	v_add_f64 v[24:25], v[26:27], -v[24:25]
	v_add_f64 v[26:27], v[22:23], v[20:21]
	v_add_f64 v[28:29], v[26:27], -v[22:23]
	v_add_f64 v[30:31], v[26:27], -v[28:29]
	v_add_f64 v[22:23], v[22:23], -v[30:31]
	v_add_f64 v[20:21], v[20:21], -v[28:29]
	v_add_f64 v[20:21], v[20:21], v[22:23]
	v_add_f64 v[22:23], v[24:25], v[18:19]
	v_add_f64 v[28:29], v[22:23], -v[24:25]
	v_add_f64 v[30:31], v[22:23], -v[28:29]
	v_add_f64 v[20:21], v[22:23], v[20:21]
	v_add_f64 v[24:25], v[24:25], -v[30:31]
	v_add_f64 v[18:19], v[18:19], -v[28:29]
	v_add_f64 v[22:23], v[26:27], v[20:21]
	v_add_f64 v[18:19], v[18:19], v[24:25]
	v_add_f64 v[24:25], v[22:23], -v[26:27]
	v_add_f64 v[20:21], v[20:21], -v[24:25]
	s_mov_b32 s0, 0
	v_add_f64 v[18:19], v[18:19], v[20:21]
	s_mov_b32 s1, 0x7ff00000
	v_add_f64 v[18:19], v[22:23], v[18:19]
	v_cmp_eq_f64_e32 vcc, s[0:1], v[16:17]
	v_cndmask_b32_e32 v5, v18, v16, vcc
	v_cndmask_b32_e32 v7, v19, v17, vcc
	v_mov_b32_e32 v9, 0xfff00000
	v_cmp_neq_f64_e32 vcc, 0, v[16:17]
	v_cndmask_b32_e32 v17, v9, v7, vcc
	v_cndmask_b32_e32 v16, 0, v5, vcc
	v_cvt_f64_f32_e32 v[18:19], v3
	v_fma_f64 v[14:15], -v[16:17], v[18:19], v[14:15]
	v_cvt_f32_f64_e32 v3, v[14:15]
                                        ; implicit-def: $vgpr5
.LBB19_82:
	s_andn2_saveexec_b64 s[10:11], s[10:11]
	s_cbranch_execz .LBB19_84
; %bb.83:
	s_mov_b32 s12, 0x41000000
	v_div_scale_f32 v3, s[0:1], v5, v5, s12
	v_rcp_f32_e32 v7, v3
	v_div_scale_f32 v9, vcc, s12, v5, s12
	s_mov_b32 s0, 0xbfb8aa3b
	v_fma_f32 v11, -v3, v7, 1.0
	v_fmac_f32_e32 v7, v11, v7
	v_mul_f32_e32 v11, v9, v7
	v_fma_f32 v13, -v3, v11, v9
	v_fmac_f32_e32 v11, v13, v7
	v_fma_f32 v3, -v3, v11, v9
	v_div_fmas_f32 v3, v3, v7, v11
	v_div_fixup_f32 v3, v3, v5, s12
	v_add_f32_e32 v3, -2.0, v3
	v_mov_b32_e32 v7, 0xa397f665
	v_fmac_f32_e32 v7, 0x22c38d2e, v3
	v_mov_b32_e32 v9, 0xa2c38d2e
	v_fmac_f32_e32 v9, v3, v7
	v_add_f32_e32 v9, 0x24704972, v9
	v_fma_f32 v7, v3, v9, -v7
	v_add_f32_e32 v7, 0xa5417ca4, v7
	v_fma_f32 v9, v3, v7, -v9
	;; [unrolled: 2-line block ×17, first 2 shown]
	v_add_f32_e32 v7, 0xb5f5daa4, v7
	v_mul_f32_e32 v11, 0xbfb8aa3b, v5
	v_fma_f32 v9, v3, v7, -v9
	v_rndne_f32_e32 v13, v11
	v_add_f32_e32 v9, 0x376a09fe, v9
	v_sub_f32_e32 v14, v11, v13
	v_fma_f32 v11, v5, s0, -v11
	v_fma_f32 v7, v3, v9, -v7
	v_fmac_f32_e32 v11, 0xb2a5705f, v5
	v_add_f32_e32 v7, 0xb906bcbf, v7
	v_add_f32_e32 v11, v14, v11
	v_fma_f32 v9, v3, v7, -v9
	v_exp_f32_e32 v11, v11
	v_cvt_i32_f32_e32 v13, v13
	v_add_f32_e32 v9, 0x3acdc490, v9
	v_fma_f32 v7, v3, v9, -v7
	v_add_f32_e32 v7, 0xbd00cfb9, v7
	s_mov_b32 s0, 0x42ce8ed0
	v_fma_f32 v3, v3, v7, -v9
	v_ldexp_f32 v7, v11, v13
	v_cmp_nlt_f32_e32 vcc, s0, v5
	s_mov_b32 s0, 0xc2b17218
	v_cndmask_b32_e32 v7, 0, v7, vcc
	v_mov_b32_e32 v11, 0x7f800000
	v_cmp_ngt_f32_e32 vcc, s0, v5
	s_mov_b32 s0, 0xf800000
	v_cndmask_b32_e32 v7, v11, v7, vcc
	v_mul_f32_e32 v11, 0x4f800000, v5
	v_cmp_gt_f32_e32 vcc, s0, v5
	v_cndmask_b32_e32 v5, v5, v11, vcc
	v_sqrt_f32_e32 v11, v5
	v_add_f32_e32 v3, 0x401c2ded, v3
	v_sub_f32_e32 v3, v3, v9
	v_mul_f32_e32 v3, 0.5, v3
	v_mul_f32_e32 v3, v7, v3
	v_add_u32_e32 v7, -1, v11
	v_fma_f32 v9, -v7, v11, v5
	v_cmp_ge_f32_e64 s[0:1], 0, v9
	v_add_u32_e32 v9, 1, v11
	v_cndmask_b32_e64 v7, v11, v7, s[0:1]
	v_fma_f32 v11, -v9, v11, v5
	v_cmp_lt_f32_e64 s[0:1], 0, v11
	v_cndmask_b32_e64 v7, v7, v9, s[0:1]
	v_mul_f32_e32 v9, 0x37800000, v7
	v_cndmask_b32_e32 v7, v7, v9, vcc
	v_mov_b32_e32 v9, 0x260
	v_cmp_class_f32_e32 vcc, v5, v9
	v_cndmask_b32_e32 v5, v7, v5, vcc
	v_div_scale_f32 v7, s[0:1], v5, v5, v3
	v_rcp_f32_e32 v9, v7
	v_fma_f32 v11, -v7, v9, 1.0
	v_fmac_f32_e32 v9, v11, v9
	v_div_scale_f32 v11, vcc, v3, v5, v3
	v_mul_f32_e32 v13, v11, v9
	v_fma_f32 v14, -v7, v13, v11
	v_fmac_f32_e32 v13, v14, v9
	v_fma_f32 v7, -v7, v13, v11
	v_div_fmas_f32 v7, v7, v9, v13
	v_div_fixup_f32 v3, v7, v5, v3
.LBB19_84:
	s_or_b64 exec, exec, s[10:11]
.LBB19_85:
	s_or_b64 exec, exec, s[8:9]
.LBB19_86:
	s_or_b64 exec, exec, s[2:3]
	global_load_dword v5, v12, s[6:7]
	s_waitcnt vmcnt(0)
	v_cmp_neq_f32_e32 vcc, 0, v5
	s_and_saveexec_b64 s[2:3], vcc
	s_cbranch_execz .LBB19_98
; %bb.87:
	v_cmp_ngt_f32_e32 vcc, 0, v5
	v_mov_b32_e32 v1, 0x7fc00000
	s_and_saveexec_b64 s[8:9], vcc
	s_cbranch_execz .LBB19_97
; %bb.88:
	v_cmp_ge_f32_e32 vcc, 2.0, v5
                                        ; implicit-def: $vgpr1
	s_and_saveexec_b64 s[0:1], vcc
	s_xor_b64 s[10:11], exec, s[0:1]
	s_cbranch_execz .LBB19_94
; %bb.89:
	s_mov_b32 s0, 0x41000000
	v_cmp_ge_f32_e32 vcc, s0, v5
                                        ; implicit-def: $vgpr1
	s_and_saveexec_b64 s[0:1], vcc
	s_xor_b64 s[0:1], exec, s[0:1]
	s_cbranch_execz .LBB19_91
; %bb.90:
	v_fma_f32 v1, v5, 0.5, -2.0
	v_mov_b32_e32 v7, 0x24199b15
	v_fmac_f32_e32 v7, 0xa2a2e5b9, v1
	v_mov_b32_e32 v9, 0x22a2e5b9
	v_fmac_f32_e32 v9, v1, v7
	v_add_f32_e32 v9, 0xa58c275c, v9
	v_fma_f32 v7, v1, v9, -v7
	v_add_f32_e32 v7, 0x26f736c5, v7
	v_fma_f32 v9, v1, v7, -v9
	;; [unrolled: 2-line block ×23, first 2 shown]
	v_mul_f32_e32 v11, 0x3fb8aa3b, v5
	v_add_f32_e32 v7, 0x3d49f456, v7
	s_mov_b32 s12, 0x3fb8aa3b
	v_rndne_f32_e32 v12, v11
	v_fma_f32 v9, v1, v7, -v9
	v_sub_f32_e32 v13, v11, v12
	v_fma_f32 v11, v5, s12, -v11
	v_add_f32_e32 v9, 0xbdc25b82, v9
	v_fmac_f32_e32 v11, 0x32a5705f, v5
	v_fma_f32 v7, v1, v9, -v7
	v_add_f32_e32 v11, v13, v11
	v_add_f32_e32 v7, 0x3e2fbd64, v7
	v_exp_f32_e32 v11, v11
	v_cvt_i32_f32_e32 v12, v12
	v_fma_f32 v9, v1, v7, -v9
	v_add_f32_e32 v9, 0xbe9bff5e, v9
	v_fma_f32 v1, v1, v9, -v7
	s_mov_b32 s12, 0xc2ce8ed0
	v_add_f32_e32 v1, 0x3f2d4275, v1
	v_ldexp_f32 v9, v11, v12
	v_cmp_ngt_f32_e32 vcc, s12, v5
	s_mov_b32 s12, 0x42b17218
	v_cndmask_b32_e32 v9, 0, v9, vcc
	v_mov_b32_e32 v11, 0x7f800000
	v_cmp_nlt_f32_e32 vcc, s12, v5
	v_sub_f32_e32 v1, v1, v7
	v_cndmask_b32_e32 v9, v11, v9, vcc
	v_mul_f32_e32 v1, 0.5, v1
	v_mul_f32_e32 v1, v9, v1
.LBB19_91:
	s_andn2_saveexec_b64 s[12:13], s[0:1]
	s_cbranch_execz .LBB19_93
; %bb.92:
	s_mov_b32 s14, 0x42000000
	v_div_scale_f32 v1, s[0:1], v5, v5, s14
	v_rcp_f32_e32 v7, v1
	v_div_scale_f32 v9, vcc, s14, v5, s14
	s_mov_b32 s0, 0x3fb8aa3b
	v_fma_f32 v11, -v1, v7, 1.0
	v_fmac_f32_e32 v7, v11, v7
	v_mul_f32_e32 v11, v9, v7
	v_fma_f32 v12, -v1, v11, v9
	v_fmac_f32_e32 v11, v12, v7
	v_fma_f32 v1, -v1, v11, v9
	v_div_fmas_f32 v1, v1, v7, v11
	v_div_fixup_f32 v1, v1, v5, s14
	v_add_f32_e32 v1, -2.0, v1
	v_mov_b32_e32 v7, 0xa2b236d3
	v_fmac_f32_e32 v7, 0xa3056dbb, v1
	v_mov_b32_e32 v9, 0x23056dbb
	v_fmac_f32_e32 v9, v1, v7
	v_add_f32_e32 v9, 0x244df0c1, v9
	v_fma_f32 v7, v1, v9, -v7
	v_add_f32_e32 v7, 0x241f9ee8, v7
	v_fma_f32 v9, v1, v7, -v9
	;; [unrolled: 2-line block ×17, first 2 shown]
	v_add_f32_e32 v7, 0x32c2b494, v7
	v_mul_f32_e32 v11, 0x3fb8aa3b, v5
	v_fma_f32 v9, v1, v7, -v9
	v_rndne_f32_e32 v12, v11
	v_add_f32_e32 v9, 0x345c003f, v9
	v_sub_f32_e32 v13, v11, v12
	v_fma_f32 v11, v5, s0, -v11
	v_fma_f32 v7, v1, v9, -v7
	v_fmac_f32_e32 v11, 0x32a5705f, v5
	v_add_f32_e32 v7, 0x3642095e, v7
	v_add_f32_e32 v11, v13, v11
	v_fma_f32 v9, v1, v7, -v9
	v_exp_f32_e32 v11, v11
	v_cvt_i32_f32_e32 v12, v12
	v_add_f32_e32 v9, 0x38907d1c, v9
	v_fma_f32 v7, v1, v9, -v7
	v_add_f32_e32 v7, 0x3b5ccc65, v7
	s_mov_b32 s0, 0xc2ce8ed0
	v_fma_f32 v1, v1, v7, -v9
	v_ldexp_f32 v7, v11, v12
	v_cmp_ngt_f32_e32 vcc, s0, v5
	s_mov_b32 s0, 0x42b17218
	v_cndmask_b32_e32 v7, 0, v7, vcc
	v_mov_b32_e32 v11, 0x7f800000
	v_cmp_nlt_f32_e32 vcc, s0, v5
	s_mov_b32 s0, 0xf800000
	v_cndmask_b32_e32 v7, v11, v7, vcc
	v_mul_f32_e32 v11, 0x4f800000, v5
	v_cmp_gt_f32_e32 vcc, s0, v5
	v_cndmask_b32_e32 v11, v5, v11, vcc
	v_sqrt_f32_e32 v12, v11
	v_add_f32_e32 v1, 0x3f4df315, v1
	v_sub_f32_e32 v1, v1, v9
	v_mul_f32_e32 v1, 0.5, v1
	v_mul_f32_e32 v1, v7, v1
	v_add_u32_e32 v7, -1, v12
	v_fma_f32 v9, -v7, v12, v11
	v_cmp_ge_f32_e64 s[0:1], 0, v9
	v_add_u32_e32 v9, 1, v12
	v_cndmask_b32_e64 v7, v12, v7, s[0:1]
	v_fma_f32 v12, -v9, v12, v11
	v_cmp_lt_f32_e64 s[0:1], 0, v12
	v_cndmask_b32_e64 v7, v7, v9, s[0:1]
	v_mul_f32_e32 v9, 0x37800000, v7
	v_cndmask_b32_e32 v7, v7, v9, vcc
	v_mov_b32_e32 v9, 0x260
	v_cmp_class_f32_e32 vcc, v11, v9
	v_cndmask_b32_e32 v7, v7, v11, vcc
	v_div_scale_f32 v9, s[0:1], v7, v7, v1
	v_rcp_f32_e32 v11, v9
	v_fma_f32 v12, -v9, v11, 1.0
	v_fmac_f32_e32 v11, v12, v11
	v_div_scale_f32 v12, vcc, v1, v7, v1
	v_mul_f32_e32 v13, v12, v11
	v_fma_f32 v14, -v9, v13, v12
	v_fmac_f32_e32 v13, v14, v11
	v_fma_f32 v9, -v9, v13, v12
	v_div_fmas_f32 v9, v9, v11, v13
	v_div_fixup_f32 v1, v9, v7, v1
.LBB19_93:
	s_or_b64 exec, exec, s[12:13]
	v_fma_f32 v7, v5, v5, -2.0
	v_mov_b32_e32 v9, 0x293fd856
	v_fmac_f32_e32 v9, 0x251e770f, v7
	v_mov_b32_e32 v11, 0xa51e770f
	v_fmac_f32_e32 v11, v7, v9
	v_add_f32_e32 v11, 0x2d3612e2, v11
	v_fma_f32 v9, v7, v11, -v9
	v_add_f32_e32 v9, 0x3102e09b, v9
	v_fma_f32 v11, v7, v9, -v11
	;; [unrolled: 2-line block ×7, first 2 shown]
	v_add_f32_e32 v7, 0xbf090b37, v7
	v_cvt_f64_f32_e32 v[14:15], v5
	v_sub_f32_e32 v7, v7, v9
	v_mul_f64 v[14:15], v[14:15], 0.5
	s_mov_b32 s0, 0x55555555
	v_mul_f32_e32 v7, 0.5, v7
	v_frexp_mant_f64_e32 v[16:17], v[14:15]
	s_mov_b32 s1, 0x3fe55555
	v_cvt_f64_f32_e32 v[12:13], v7
	v_mov_b32_e32 v7, 0x3ff00000
	v_cmp_gt_f64_e32 vcc, s[0:1], v[16:17]
	v_cndmask_b32_e64 v19, v7, 2.0, vcc
	v_mov_b32_e32 v18, 0
	v_mul_f64 v[16:17], v[16:17], v[18:19]
	v_add_f64 v[18:19], v[16:17], 1.0
	v_rcp_f64_e32 v[20:21], v[18:19]
	v_add_f64 v[24:25], v[18:19], -1.0
	v_add_f64 v[22:23], v[16:17], -1.0
	v_add_f64 v[16:17], v[16:17], -v[24:25]
	v_fma_f64 v[24:25], -v[18:19], v[20:21], 1.0
	v_fmac_f64_e32 v[20:21], v[24:25], v[20:21]
	v_fma_f64 v[24:25], -v[18:19], v[20:21], 1.0
	v_fmac_f64_e32 v[20:21], v[24:25], v[20:21]
	v_mul_f64 v[24:25], v[22:23], v[20:21]
	v_mul_f64 v[26:27], v[18:19], v[24:25]
	v_fma_f64 v[18:19], v[24:25], v[18:19], -v[26:27]
	v_fmac_f64_e32 v[18:19], v[24:25], v[16:17]
	v_add_f64 v[16:17], v[26:27], v[18:19]
	v_add_f64 v[28:29], v[22:23], -v[16:17]
	v_add_f64 v[26:27], v[16:17], -v[26:27]
	;; [unrolled: 1-line block ×5, first 2 shown]
	v_add_f64 v[16:17], v[18:19], v[16:17]
	v_add_f64 v[16:17], v[28:29], v[16:17]
	v_mul_f64 v[16:17], v[20:21], v[16:17]
	v_add_f64 v[18:19], v[24:25], v[16:17]
	v_add_f64 v[20:21], v[18:19], -v[24:25]
	s_mov_b32 s0, 0xbf559e2b
	v_add_f64 v[16:17], v[16:17], -v[20:21]
	v_mul_f64 v[20:21], v[18:19], v[18:19]
	v_mov_b32_e32 v22, 0x6b47b09a
	v_mov_b32_e32 v23, 0x3fc38538
	s_mov_b32 s1, 0x3fc3ab76
	v_fmac_f64_e32 v[22:23], s[0:1], v[20:21]
	v_mov_b32_e32 v24, 0xd7f4df2e
	v_mov_b32_e32 v25, 0x3fc7474d
	v_fmac_f64_e32 v[24:25], v[20:21], v[22:23]
	v_mov_b32_e32 v22, 0x16291751
	v_mov_b32_e32 v23, 0x3fcc71c0
	;; [unrolled: 3-line block ×5, first 2 shown]
	v_fmac_f64_e32 v[24:25], v[20:21], v[22:23]
	v_ldexp_f64 v[22:23], v[18:19], 1
	v_mul_f64 v[18:19], v[18:19], v[20:21]
	v_mul_f64 v[18:19], v[18:19], v[24:25]
	v_add_f64 v[20:21], v[22:23], v[18:19]
	v_add_f64 v[22:23], v[20:21], -v[22:23]
	v_ldexp_f64 v[16:17], v[16:17], 1
	v_add_f64 v[18:19], v[18:19], -v[22:23]
	v_add_f64 v[16:17], v[16:17], v[18:19]
	v_frexp_exp_i32_f64_e32 v5, v[14:15]
	v_add_f64 v[18:19], v[20:21], v[16:17]
	v_subbrev_co_u32_e32 v5, vcc, 0, v5, vcc
	v_add_f64 v[20:21], v[18:19], -v[20:21]
	s_mov_b32 s0, 0xfefa39ef
	v_add_f64 v[16:17], v[16:17], -v[20:21]
	v_cvt_f64_i32_e32 v[20:21], v5
	s_mov_b32 s1, 0x3fe62e42
	v_mul_f64 v[22:23], v[20:21], s[0:1]
	v_fma_f64 v[24:25], v[20:21], s[0:1], -v[22:23]
	s_mov_b32 s0, 0x3b39803f
	s_mov_b32 s1, 0x3c7abc9e
	v_fmac_f64_e32 v[24:25], s[0:1], v[20:21]
	v_add_f64 v[20:21], v[22:23], v[24:25]
	v_add_f64 v[22:23], v[20:21], -v[22:23]
	v_add_f64 v[22:23], v[24:25], -v[22:23]
	v_add_f64 v[24:25], v[20:21], v[18:19]
	v_add_f64 v[26:27], v[24:25], -v[20:21]
	v_add_f64 v[28:29], v[24:25], -v[26:27]
	;; [unrolled: 1-line block ×4, first 2 shown]
	v_add_f64 v[18:19], v[18:19], v[20:21]
	v_add_f64 v[20:21], v[22:23], v[16:17]
	v_add_f64 v[26:27], v[20:21], -v[22:23]
	v_add_f64 v[28:29], v[20:21], -v[26:27]
	v_add_f64 v[18:19], v[20:21], v[18:19]
	v_add_f64 v[22:23], v[22:23], -v[28:29]
	v_add_f64 v[16:17], v[16:17], -v[26:27]
	v_add_f64 v[20:21], v[24:25], v[18:19]
	v_add_f64 v[16:17], v[16:17], v[22:23]
	v_add_f64 v[22:23], v[20:21], -v[24:25]
	v_add_f64 v[18:19], v[18:19], -v[22:23]
	s_mov_b32 s0, 0
	v_add_f64 v[16:17], v[16:17], v[18:19]
	s_mov_b32 s1, 0x7ff00000
	v_add_f64 v[16:17], v[20:21], v[16:17]
	v_cmp_eq_f64_e32 vcc, s[0:1], v[14:15]
	v_cndmask_b32_e32 v5, v16, v14, vcc
	v_cndmask_b32_e32 v7, v17, v15, vcc
	v_mov_b32_e32 v9, 0xfff00000
	v_cmp_neq_f64_e32 vcc, 0, v[14:15]
	v_cndmask_b32_e32 v15, v9, v7, vcc
	v_cndmask_b32_e32 v14, 0, v5, vcc
	v_cvt_f64_f32_e32 v[16:17], v1
	v_fma_f64 v[12:13], -v[14:15], v[16:17], v[12:13]
	v_cvt_f32_f64_e32 v1, v[12:13]
                                        ; implicit-def: $vgpr5
.LBB19_94:
	s_andn2_saveexec_b64 s[10:11], s[10:11]
	s_cbranch_execz .LBB19_96
; %bb.95:
	s_mov_b32 s12, 0x41000000
	v_div_scale_f32 v1, s[0:1], v5, v5, s12
	v_rcp_f32_e32 v7, v1
	v_div_scale_f32 v9, vcc, s12, v5, s12
	s_mov_b32 s0, 0xbfb8aa3b
	v_fma_f32 v11, -v1, v7, 1.0
	v_fmac_f32_e32 v7, v11, v7
	v_mul_f32_e32 v11, v9, v7
	v_fma_f32 v12, -v1, v11, v9
	v_fmac_f32_e32 v11, v12, v7
	v_fma_f32 v1, -v1, v11, v9
	v_div_fmas_f32 v1, v1, v7, v11
	v_div_fixup_f32 v1, v1, v5, s12
	v_add_f32_e32 v1, -2.0, v1
	v_mov_b32_e32 v7, 0xa397f665
	v_fmac_f32_e32 v7, 0x22c38d2e, v1
	v_mov_b32_e32 v9, 0xa2c38d2e
	v_fmac_f32_e32 v9, v1, v7
	v_add_f32_e32 v9, 0x24704972, v9
	v_fma_f32 v7, v1, v9, -v7
	v_add_f32_e32 v7, 0xa5417ca4, v7
	v_fma_f32 v9, v1, v7, -v9
	;; [unrolled: 2-line block ×17, first 2 shown]
	v_add_f32_e32 v7, 0xb5f5daa4, v7
	v_mul_f32_e32 v11, 0xbfb8aa3b, v5
	v_fma_f32 v9, v1, v7, -v9
	v_rndne_f32_e32 v12, v11
	v_add_f32_e32 v9, 0x376a09fe, v9
	v_sub_f32_e32 v13, v11, v12
	v_fma_f32 v11, v5, s0, -v11
	v_fma_f32 v7, v1, v9, -v7
	v_fmac_f32_e32 v11, 0xb2a5705f, v5
	v_add_f32_e32 v7, 0xb906bcbf, v7
	v_add_f32_e32 v11, v13, v11
	v_fma_f32 v9, v1, v7, -v9
	v_exp_f32_e32 v11, v11
	v_cvt_i32_f32_e32 v12, v12
	v_add_f32_e32 v9, 0x3acdc490, v9
	v_fma_f32 v7, v1, v9, -v7
	v_add_f32_e32 v7, 0xbd00cfb9, v7
	s_mov_b32 s0, 0x42ce8ed0
	v_fma_f32 v1, v1, v7, -v9
	v_ldexp_f32 v7, v11, v12
	v_cmp_nlt_f32_e32 vcc, s0, v5
	s_mov_b32 s0, 0xc2b17218
	v_cndmask_b32_e32 v7, 0, v7, vcc
	v_mov_b32_e32 v11, 0x7f800000
	v_cmp_ngt_f32_e32 vcc, s0, v5
	s_mov_b32 s0, 0xf800000
	v_cndmask_b32_e32 v7, v11, v7, vcc
	v_mul_f32_e32 v11, 0x4f800000, v5
	v_cmp_gt_f32_e32 vcc, s0, v5
	v_cndmask_b32_e32 v5, v5, v11, vcc
	v_sqrt_f32_e32 v11, v5
	v_add_f32_e32 v1, 0x401c2ded, v1
	v_sub_f32_e32 v1, v1, v9
	v_mul_f32_e32 v1, 0.5, v1
	v_mul_f32_e32 v1, v7, v1
	v_add_u32_e32 v7, -1, v11
	v_fma_f32 v9, -v7, v11, v5
	v_cmp_ge_f32_e64 s[0:1], 0, v9
	v_add_u32_e32 v9, 1, v11
	v_cndmask_b32_e64 v7, v11, v7, s[0:1]
	v_fma_f32 v11, -v9, v11, v5
	v_cmp_lt_f32_e64 s[0:1], 0, v11
	v_cndmask_b32_e64 v7, v7, v9, s[0:1]
	v_mul_f32_e32 v9, 0x37800000, v7
	v_cndmask_b32_e32 v7, v7, v9, vcc
	v_mov_b32_e32 v9, 0x260
	v_cmp_class_f32_e32 vcc, v5, v9
	v_cndmask_b32_e32 v5, v7, v5, vcc
	v_div_scale_f32 v7, s[0:1], v5, v5, v1
	v_rcp_f32_e32 v9, v7
	v_fma_f32 v11, -v7, v9, 1.0
	v_fmac_f32_e32 v9, v11, v9
	v_div_scale_f32 v11, vcc, v1, v5, v1
	v_mul_f32_e32 v12, v11, v9
	v_fma_f32 v13, -v7, v12, v11
	v_fmac_f32_e32 v12, v13, v9
	v_fma_f32 v7, -v7, v12, v11
	v_div_fmas_f32 v7, v7, v9, v12
	v_div_fixup_f32 v1, v7, v5, v1
.LBB19_96:
	s_or_b64 exec, exec, s[10:11]
.LBB19_97:
	s_or_b64 exec, exec, s[8:9]
.LBB19_98:
	s_or_b64 exec, exec, s[2:3]
	global_load_dword v9, v10, s[6:7]
	v_mov_b32_e32 v5, 0x7f800000
	v_mov_b32_e32 v7, 0x7f800000
	s_waitcnt vmcnt(0)
	v_cmp_neq_f32_e32 vcc, 0, v9
	s_and_saveexec_b64 s[2:3], vcc
	s_cbranch_execz .LBB19_110
; %bb.99:
	v_cmp_ngt_f32_e32 vcc, 0, v9
	v_mov_b32_e32 v7, 0x7fc00000
	s_and_saveexec_b64 s[8:9], vcc
	s_cbranch_execz .LBB19_109
; %bb.100:
	v_cmp_ge_f32_e32 vcc, 2.0, v9
                                        ; implicit-def: $vgpr7
	s_and_saveexec_b64 s[0:1], vcc
	s_xor_b64 s[10:11], exec, s[0:1]
	s_cbranch_execz .LBB19_106
; %bb.101:
	s_mov_b32 s0, 0x41000000
	v_cmp_ge_f32_e32 vcc, s0, v9
                                        ; implicit-def: $vgpr7
	s_and_saveexec_b64 s[0:1], vcc
	s_xor_b64 s[0:1], exec, s[0:1]
	s_cbranch_execz .LBB19_103
; %bb.102:
	v_fma_f32 v7, v9, 0.5, -2.0
	v_mov_b32_e32 v10, 0x24199b15
	v_fmac_f32_e32 v10, 0xa2a2e5b9, v7
	v_mov_b32_e32 v11, 0x22a2e5b9
	v_fmac_f32_e32 v11, v7, v10
	v_add_f32_e32 v11, 0xa58c275c, v11
	v_fma_f32 v10, v7, v11, -v10
	v_add_f32_e32 v10, 0x26f736c5, v10
	v_fma_f32 v11, v7, v10, -v11
	;; [unrolled: 2-line block ×23, first 2 shown]
	v_mul_f32_e32 v12, 0x3fb8aa3b, v9
	v_add_f32_e32 v10, 0x3d49f456, v10
	s_mov_b32 s12, 0x3fb8aa3b
	v_rndne_f32_e32 v13, v12
	v_fma_f32 v11, v7, v10, -v11
	v_sub_f32_e32 v14, v12, v13
	v_fma_f32 v12, v9, s12, -v12
	v_add_f32_e32 v11, 0xbdc25b82, v11
	v_fmac_f32_e32 v12, 0x32a5705f, v9
	v_fma_f32 v10, v7, v11, -v10
	v_add_f32_e32 v12, v14, v12
	v_add_f32_e32 v10, 0x3e2fbd64, v10
	v_exp_f32_e32 v12, v12
	v_cvt_i32_f32_e32 v13, v13
	v_fma_f32 v11, v7, v10, -v11
	v_add_f32_e32 v11, 0xbe9bff5e, v11
	v_fma_f32 v7, v7, v11, -v10
	s_mov_b32 s12, 0xc2ce8ed0
	v_add_f32_e32 v7, 0x3f2d4275, v7
	v_ldexp_f32 v11, v12, v13
	v_cmp_ngt_f32_e32 vcc, s12, v9
	s_mov_b32 s12, 0x42b17218
	v_cndmask_b32_e32 v11, 0, v11, vcc
	v_mov_b32_e32 v12, 0x7f800000
	v_cmp_nlt_f32_e32 vcc, s12, v9
	v_sub_f32_e32 v7, v7, v10
	v_cndmask_b32_e32 v11, v12, v11, vcc
	v_mul_f32_e32 v7, 0.5, v7
	v_mul_f32_e32 v7, v11, v7
.LBB19_103:
	s_andn2_saveexec_b64 s[12:13], s[0:1]
	s_cbranch_execz .LBB19_105
; %bb.104:
	s_mov_b32 s14, 0x42000000
	v_div_scale_f32 v7, s[0:1], v9, v9, s14
	v_rcp_f32_e32 v10, v7
	v_div_scale_f32 v11, vcc, s14, v9, s14
	s_mov_b32 s0, 0x3fb8aa3b
	v_fma_f32 v12, -v7, v10, 1.0
	v_fmac_f32_e32 v10, v12, v10
	v_mul_f32_e32 v12, v11, v10
	v_fma_f32 v13, -v7, v12, v11
	v_fmac_f32_e32 v12, v13, v10
	v_fma_f32 v7, -v7, v12, v11
	v_div_fmas_f32 v7, v7, v10, v12
	v_div_fixup_f32 v7, v7, v9, s14
	v_add_f32_e32 v7, -2.0, v7
	v_mov_b32_e32 v10, 0xa2b236d3
	v_fmac_f32_e32 v10, 0xa3056dbb, v7
	v_mov_b32_e32 v11, 0x23056dbb
	v_fmac_f32_e32 v11, v7, v10
	v_add_f32_e32 v11, 0x244df0c1, v11
	v_fma_f32 v10, v7, v11, -v10
	v_add_f32_e32 v10, 0x241f9ee8, v10
	v_fma_f32 v11, v7, v10, -v11
	;; [unrolled: 2-line block ×17, first 2 shown]
	v_add_f32_e32 v10, 0x32c2b494, v10
	v_mul_f32_e32 v12, 0x3fb8aa3b, v9
	v_fma_f32 v11, v7, v10, -v11
	v_rndne_f32_e32 v13, v12
	v_add_f32_e32 v11, 0x345c003f, v11
	v_sub_f32_e32 v14, v12, v13
	v_fma_f32 v12, v9, s0, -v12
	v_fma_f32 v10, v7, v11, -v10
	v_fmac_f32_e32 v12, 0x32a5705f, v9
	v_add_f32_e32 v10, 0x3642095e, v10
	v_add_f32_e32 v12, v14, v12
	v_fma_f32 v11, v7, v10, -v11
	v_exp_f32_e32 v12, v12
	v_cvt_i32_f32_e32 v13, v13
	v_add_f32_e32 v11, 0x38907d1c, v11
	v_fma_f32 v10, v7, v11, -v10
	v_add_f32_e32 v10, 0x3b5ccc65, v10
	s_mov_b32 s0, 0xc2ce8ed0
	v_fma_f32 v7, v7, v10, -v11
	v_ldexp_f32 v10, v12, v13
	v_cmp_ngt_f32_e32 vcc, s0, v9
	s_mov_b32 s0, 0x42b17218
	v_cndmask_b32_e32 v10, 0, v10, vcc
	v_mov_b32_e32 v12, 0x7f800000
	v_cmp_nlt_f32_e32 vcc, s0, v9
	s_mov_b32 s0, 0xf800000
	v_cndmask_b32_e32 v10, v12, v10, vcc
	v_mul_f32_e32 v12, 0x4f800000, v9
	v_cmp_gt_f32_e32 vcc, s0, v9
	v_cndmask_b32_e32 v12, v9, v12, vcc
	v_sqrt_f32_e32 v13, v12
	v_add_f32_e32 v7, 0x3f4df315, v7
	v_sub_f32_e32 v7, v7, v11
	v_mul_f32_e32 v7, 0.5, v7
	v_mul_f32_e32 v7, v10, v7
	v_add_u32_e32 v10, -1, v13
	v_fma_f32 v11, -v10, v13, v12
	v_cmp_ge_f32_e64 s[0:1], 0, v11
	v_add_u32_e32 v11, 1, v13
	v_cndmask_b32_e64 v10, v13, v10, s[0:1]
	v_fma_f32 v13, -v11, v13, v12
	v_cmp_lt_f32_e64 s[0:1], 0, v13
	v_cndmask_b32_e64 v10, v10, v11, s[0:1]
	v_mul_f32_e32 v11, 0x37800000, v10
	v_cndmask_b32_e32 v10, v10, v11, vcc
	v_mov_b32_e32 v11, 0x260
	v_cmp_class_f32_e32 vcc, v12, v11
	v_cndmask_b32_e32 v10, v10, v12, vcc
	v_div_scale_f32 v11, s[0:1], v10, v10, v7
	v_rcp_f32_e32 v12, v11
	v_fma_f32 v13, -v11, v12, 1.0
	v_fmac_f32_e32 v12, v13, v12
	v_div_scale_f32 v13, vcc, v7, v10, v7
	v_mul_f32_e32 v14, v13, v12
	v_fma_f32 v15, -v11, v14, v13
	v_fmac_f32_e32 v14, v15, v12
	v_fma_f32 v11, -v11, v14, v13
	v_div_fmas_f32 v11, v11, v12, v14
	v_div_fixup_f32 v7, v11, v10, v7
.LBB19_105:
	s_or_b64 exec, exec, s[12:13]
	v_fma_f32 v10, v9, v9, -2.0
	v_mov_b32_e32 v11, 0x293fd856
	v_fmac_f32_e32 v11, 0x251e770f, v10
	v_mov_b32_e32 v12, 0xa51e770f
	v_fmac_f32_e32 v12, v10, v11
	v_add_f32_e32 v12, 0x2d3612e2, v12
	v_fma_f32 v11, v10, v12, -v11
	v_add_f32_e32 v11, 0x3102e09b, v11
	v_fma_f32 v12, v10, v11, -v12
	;; [unrolled: 2-line block ×7, first 2 shown]
	v_cvt_f64_f32_e32 v[12:13], v9
	v_mul_f64 v[12:13], v[12:13], 0.5
	s_mov_b32 s0, 0x55555555
	v_frexp_mant_f64_e32 v[14:15], v[12:13]
	s_mov_b32 s1, 0x3fe55555
	v_mov_b32_e32 v16, 0x3ff00000
	v_cmp_gt_f64_e32 vcc, s[0:1], v[14:15]
	v_cndmask_b32_e64 v17, v16, 2.0, vcc
	v_mov_b32_e32 v16, 0
	v_mul_f64 v[14:15], v[14:15], v[16:17]
	v_add_f64 v[16:17], v[14:15], 1.0
	v_rcp_f64_e32 v[18:19], v[16:17]
	v_add_f64 v[22:23], v[16:17], -1.0
	v_add_f64 v[20:21], v[14:15], -1.0
	v_add_f64 v[14:15], v[14:15], -v[22:23]
	v_fma_f64 v[22:23], -v[16:17], v[18:19], 1.0
	v_fmac_f64_e32 v[18:19], v[22:23], v[18:19]
	v_fma_f64 v[22:23], -v[16:17], v[18:19], 1.0
	v_fmac_f64_e32 v[18:19], v[22:23], v[18:19]
	v_mul_f64 v[22:23], v[20:21], v[18:19]
	v_mul_f64 v[24:25], v[16:17], v[22:23]
	v_fma_f64 v[16:17], v[22:23], v[16:17], -v[24:25]
	v_fmac_f64_e32 v[16:17], v[22:23], v[14:15]
	v_add_f64 v[14:15], v[24:25], v[16:17]
	v_add_f64 v[26:27], v[20:21], -v[14:15]
	v_add_f64 v[24:25], v[14:15], -v[24:25]
	;; [unrolled: 1-line block ×5, first 2 shown]
	v_add_f64 v[14:15], v[16:17], v[14:15]
	v_add_f64 v[14:15], v[26:27], v[14:15]
	v_mul_f64 v[14:15], v[18:19], v[14:15]
	v_add_f64 v[16:17], v[22:23], v[14:15]
	v_add_f64 v[18:19], v[16:17], -v[22:23]
	s_mov_b32 s0, 0xbf559e2b
	v_add_f64 v[14:15], v[14:15], -v[18:19]
	v_mul_f64 v[18:19], v[16:17], v[16:17]
	v_mov_b32_e32 v20, 0x6b47b09a
	v_mov_b32_e32 v21, 0x3fc38538
	s_mov_b32 s1, 0x3fc3ab76
	v_fmac_f64_e32 v[20:21], s[0:1], v[18:19]
	v_mov_b32_e32 v22, 0xd7f4df2e
	v_mov_b32_e32 v23, 0x3fc7474d
	v_fmac_f64_e32 v[22:23], v[18:19], v[20:21]
	v_mov_b32_e32 v20, 0x16291751
	v_mov_b32_e32 v21, 0x3fcc71c0
	;; [unrolled: 3-line block ×5, first 2 shown]
	v_fmac_f64_e32 v[22:23], v[18:19], v[20:21]
	v_ldexp_f64 v[20:21], v[16:17], 1
	v_mul_f64 v[16:17], v[16:17], v[18:19]
	v_mul_f64 v[16:17], v[16:17], v[22:23]
	v_add_f64 v[18:19], v[20:21], v[16:17]
	v_add_f64 v[20:21], v[18:19], -v[20:21]
	v_ldexp_f64 v[14:15], v[14:15], 1
	v_add_f64 v[16:17], v[16:17], -v[20:21]
	v_add_f64 v[14:15], v[14:15], v[16:17]
	v_frexp_exp_i32_f64_e32 v9, v[12:13]
	v_add_f64 v[16:17], v[18:19], v[14:15]
	v_subbrev_co_u32_e32 v9, vcc, 0, v9, vcc
	v_add_f64 v[18:19], v[16:17], -v[18:19]
	s_mov_b32 s0, 0xfefa39ef
	v_add_f64 v[14:15], v[14:15], -v[18:19]
	v_cvt_f64_i32_e32 v[18:19], v9
	s_mov_b32 s1, 0x3fe62e42
	v_mul_f64 v[20:21], v[18:19], s[0:1]
	v_fma_f64 v[22:23], v[18:19], s[0:1], -v[20:21]
	s_mov_b32 s0, 0x3b39803f
	s_mov_b32 s1, 0x3c7abc9e
	v_fmac_f64_e32 v[22:23], s[0:1], v[18:19]
	v_add_f64 v[18:19], v[20:21], v[22:23]
	v_add_f64 v[20:21], v[18:19], -v[20:21]
	v_add_f64 v[20:21], v[22:23], -v[20:21]
	v_add_f64 v[22:23], v[18:19], v[16:17]
	v_add_f64 v[24:25], v[22:23], -v[18:19]
	v_add_f64 v[26:27], v[22:23], -v[24:25]
	;; [unrolled: 1-line block ×4, first 2 shown]
	v_add_f64 v[16:17], v[16:17], v[18:19]
	v_add_f64 v[18:19], v[20:21], v[14:15]
	v_add_f64 v[24:25], v[18:19], -v[20:21]
	v_add_f64 v[26:27], v[18:19], -v[24:25]
	v_add_f64 v[16:17], v[18:19], v[16:17]
	v_add_f64 v[20:21], v[20:21], -v[26:27]
	v_add_f64 v[14:15], v[14:15], -v[24:25]
	v_add_f64 v[18:19], v[22:23], v[16:17]
	v_add_f64 v[14:15], v[14:15], v[20:21]
	v_add_f64 v[20:21], v[18:19], -v[22:23]
	v_add_f64 v[16:17], v[16:17], -v[20:21]
	s_mov_b32 s0, 0
	v_add_f32_e32 v10, 0xbf090b37, v10
	v_add_f64 v[14:15], v[14:15], v[16:17]
	s_mov_b32 s1, 0x7ff00000
	v_sub_f32_e32 v10, v10, v11
	v_add_f64 v[14:15], v[18:19], v[14:15]
	v_cmp_eq_f64_e32 vcc, s[0:1], v[12:13]
	v_mul_f32_e32 v10, 0.5, v10
	v_cndmask_b32_e32 v9, v14, v12, vcc
	v_cndmask_b32_e32 v14, v15, v13, vcc
	v_mov_b32_e32 v15, 0xfff00000
	v_cmp_neq_f64_e32 vcc, 0, v[12:13]
	v_cvt_f64_f32_e32 v[10:11], v10
	v_cndmask_b32_e32 v13, v15, v14, vcc
	v_cndmask_b32_e32 v12, 0, v9, vcc
	v_cvt_f64_f32_e32 v[14:15], v7
	v_fma_f64 v[10:11], -v[12:13], v[14:15], v[10:11]
	v_cvt_f32_f64_e32 v7, v[10:11]
                                        ; implicit-def: $vgpr9
.LBB19_106:
	s_andn2_saveexec_b64 s[10:11], s[10:11]
	s_cbranch_execz .LBB19_108
; %bb.107:
	s_mov_b32 s12, 0x41000000
	v_div_scale_f32 v7, s[0:1], v9, v9, s12
	v_rcp_f32_e32 v10, v7
	v_div_scale_f32 v11, vcc, s12, v9, s12
	s_mov_b32 s0, 0xbfb8aa3b
	v_fma_f32 v12, -v7, v10, 1.0
	v_fmac_f32_e32 v10, v12, v10
	v_mul_f32_e32 v12, v11, v10
	v_fma_f32 v13, -v7, v12, v11
	v_fmac_f32_e32 v12, v13, v10
	v_fma_f32 v7, -v7, v12, v11
	v_div_fmas_f32 v7, v7, v10, v12
	v_div_fixup_f32 v7, v7, v9, s12
	v_add_f32_e32 v7, -2.0, v7
	v_mov_b32_e32 v10, 0xa397f665
	v_fmac_f32_e32 v10, 0x22c38d2e, v7
	v_mov_b32_e32 v11, 0xa2c38d2e
	v_fmac_f32_e32 v11, v7, v10
	v_add_f32_e32 v11, 0x24704972, v11
	v_fma_f32 v10, v7, v11, -v10
	v_add_f32_e32 v10, 0xa5417ca4, v10
	v_fma_f32 v11, v7, v10, -v11
	;; [unrolled: 2-line block ×17, first 2 shown]
	v_add_f32_e32 v10, 0xb5f5daa4, v10
	v_mul_f32_e32 v12, 0xbfb8aa3b, v9
	v_fma_f32 v11, v7, v10, -v11
	v_rndne_f32_e32 v13, v12
	v_add_f32_e32 v11, 0x376a09fe, v11
	v_sub_f32_e32 v14, v12, v13
	v_fma_f32 v12, v9, s0, -v12
	v_fma_f32 v10, v7, v11, -v10
	v_fmac_f32_e32 v12, 0xb2a5705f, v9
	v_add_f32_e32 v10, 0xb906bcbf, v10
	v_add_f32_e32 v12, v14, v12
	v_fma_f32 v11, v7, v10, -v11
	v_exp_f32_e32 v12, v12
	v_cvt_i32_f32_e32 v13, v13
	v_add_f32_e32 v11, 0x3acdc490, v11
	v_fma_f32 v10, v7, v11, -v10
	v_add_f32_e32 v10, 0xbd00cfb9, v10
	s_mov_b32 s0, 0x42ce8ed0
	v_fma_f32 v7, v7, v10, -v11
	v_ldexp_f32 v10, v12, v13
	v_cmp_nlt_f32_e32 vcc, s0, v9
	s_mov_b32 s0, 0xc2b17218
	v_cndmask_b32_e32 v10, 0, v10, vcc
	v_mov_b32_e32 v12, 0x7f800000
	v_cmp_ngt_f32_e32 vcc, s0, v9
	s_mov_b32 s0, 0xf800000
	v_cndmask_b32_e32 v10, v12, v10, vcc
	v_mul_f32_e32 v12, 0x4f800000, v9
	v_cmp_gt_f32_e32 vcc, s0, v9
	v_cndmask_b32_e32 v9, v9, v12, vcc
	v_sqrt_f32_e32 v12, v9
	v_add_f32_e32 v7, 0x401c2ded, v7
	v_sub_f32_e32 v7, v7, v11
	v_mul_f32_e32 v7, 0.5, v7
	v_mul_f32_e32 v7, v10, v7
	v_add_u32_e32 v10, -1, v12
	v_fma_f32 v11, -v10, v12, v9
	v_cmp_ge_f32_e64 s[0:1], 0, v11
	v_add_u32_e32 v11, 1, v12
	v_cndmask_b32_e64 v10, v12, v10, s[0:1]
	v_fma_f32 v12, -v11, v12, v9
	v_cmp_lt_f32_e64 s[0:1], 0, v12
	v_cndmask_b32_e64 v10, v10, v11, s[0:1]
	v_mul_f32_e32 v11, 0x37800000, v10
	v_cndmask_b32_e32 v10, v10, v11, vcc
	v_mov_b32_e32 v11, 0x260
	v_cmp_class_f32_e32 vcc, v9, v11
	v_cndmask_b32_e32 v9, v10, v9, vcc
	v_div_scale_f32 v10, s[0:1], v9, v9, v7
	v_rcp_f32_e32 v11, v10
	v_fma_f32 v12, -v10, v11, 1.0
	v_fmac_f32_e32 v11, v12, v11
	v_div_scale_f32 v12, vcc, v7, v9, v7
	v_mul_f32_e32 v13, v12, v11
	v_fma_f32 v14, -v10, v13, v12
	v_fmac_f32_e32 v13, v14, v11
	v_fma_f32 v10, -v10, v13, v12
	v_div_fmas_f32 v10, v10, v11, v13
	v_div_fixup_f32 v7, v10, v9, v7
.LBB19_108:
	s_or_b64 exec, exec, s[10:11]
.LBB19_109:
	s_or_b64 exec, exec, s[8:9]
.LBB19_110:
	s_or_b64 exec, exec, s[2:3]
	global_load_dword v10, v8, s[6:7]
	s_waitcnt vmcnt(0)
	v_cmp_neq_f32_e32 vcc, 0, v10
	s_and_saveexec_b64 s[2:3], vcc
	s_cbranch_execz .LBB19_122
; %bb.111:
	v_cmp_ngt_f32_e32 vcc, 0, v10
	v_mov_b32_e32 v5, 0x7fc00000
	s_and_saveexec_b64 s[6:7], vcc
	s_cbranch_execz .LBB19_121
; %bb.112:
	v_cmp_ge_f32_e32 vcc, 2.0, v10
                                        ; implicit-def: $vgpr5
	s_and_saveexec_b64 s[0:1], vcc
	s_xor_b64 s[8:9], exec, s[0:1]
	s_cbranch_execz .LBB19_118
; %bb.113:
	s_mov_b32 s0, 0x41000000
	v_cmp_ge_f32_e32 vcc, s0, v10
                                        ; implicit-def: $vgpr5
	s_and_saveexec_b64 s[0:1], vcc
	s_xor_b64 s[0:1], exec, s[0:1]
	s_cbranch_execz .LBB19_115
; %bb.114:
	v_fma_f32 v5, v10, 0.5, -2.0
	v_mov_b32_e32 v8, 0x24199b15
	v_fmac_f32_e32 v8, 0xa2a2e5b9, v5
	v_mov_b32_e32 v9, 0x22a2e5b9
	v_fmac_f32_e32 v9, v5, v8
	v_add_f32_e32 v9, 0xa58c275c, v9
	v_fma_f32 v8, v5, v9, -v8
	v_add_f32_e32 v8, 0x26f736c5, v8
	v_fma_f32 v9, v5, v8, -v9
	;; [unrolled: 2-line block ×23, first 2 shown]
	v_mul_f32_e32 v11, 0x3fb8aa3b, v10
	v_add_f32_e32 v8, 0x3d49f456, v8
	s_mov_b32 s10, 0x3fb8aa3b
	v_rndne_f32_e32 v12, v11
	v_fma_f32 v9, v5, v8, -v9
	v_sub_f32_e32 v13, v11, v12
	v_fma_f32 v11, v10, s10, -v11
	v_add_f32_e32 v9, 0xbdc25b82, v9
	v_fmac_f32_e32 v11, 0x32a5705f, v10
	v_fma_f32 v8, v5, v9, -v8
	v_add_f32_e32 v11, v13, v11
	v_add_f32_e32 v8, 0x3e2fbd64, v8
	v_exp_f32_e32 v11, v11
	v_cvt_i32_f32_e32 v12, v12
	v_fma_f32 v9, v5, v8, -v9
	v_add_f32_e32 v9, 0xbe9bff5e, v9
	v_fma_f32 v5, v5, v9, -v8
	s_mov_b32 s10, 0xc2ce8ed0
	v_add_f32_e32 v5, 0x3f2d4275, v5
	v_ldexp_f32 v9, v11, v12
	v_cmp_ngt_f32_e32 vcc, s10, v10
	s_mov_b32 s10, 0x42b17218
	v_cndmask_b32_e32 v9, 0, v9, vcc
	v_mov_b32_e32 v11, 0x7f800000
	v_cmp_nlt_f32_e32 vcc, s10, v10
	v_sub_f32_e32 v5, v5, v8
	v_cndmask_b32_e32 v9, v11, v9, vcc
	v_mul_f32_e32 v5, 0.5, v5
	v_mul_f32_e32 v5, v9, v5
.LBB19_115:
	s_andn2_saveexec_b64 s[10:11], s[0:1]
	s_cbranch_execz .LBB19_117
; %bb.116:
	s_mov_b32 s12, 0x42000000
	v_div_scale_f32 v5, s[0:1], v10, v10, s12
	v_rcp_f32_e32 v8, v5
	v_div_scale_f32 v9, vcc, s12, v10, s12
	s_mov_b32 s0, 0x3fb8aa3b
	v_fma_f32 v11, -v5, v8, 1.0
	v_fmac_f32_e32 v8, v11, v8
	v_mul_f32_e32 v11, v9, v8
	v_fma_f32 v12, -v5, v11, v9
	v_fmac_f32_e32 v11, v12, v8
	v_fma_f32 v5, -v5, v11, v9
	v_div_fmas_f32 v5, v5, v8, v11
	v_div_fixup_f32 v5, v5, v10, s12
	v_add_f32_e32 v5, -2.0, v5
	v_mov_b32_e32 v8, 0xa2b236d3
	v_fmac_f32_e32 v8, 0xa3056dbb, v5
	v_mov_b32_e32 v9, 0x23056dbb
	v_fmac_f32_e32 v9, v5, v8
	v_add_f32_e32 v9, 0x244df0c1, v9
	v_fma_f32 v8, v5, v9, -v8
	v_add_f32_e32 v8, 0x241f9ee8, v8
	v_fma_f32 v9, v5, v8, -v9
	;; [unrolled: 2-line block ×17, first 2 shown]
	v_add_f32_e32 v8, 0x32c2b494, v8
	v_mul_f32_e32 v11, 0x3fb8aa3b, v10
	v_fma_f32 v9, v5, v8, -v9
	v_rndne_f32_e32 v12, v11
	v_add_f32_e32 v9, 0x345c003f, v9
	v_sub_f32_e32 v13, v11, v12
	v_fma_f32 v11, v10, s0, -v11
	v_fma_f32 v8, v5, v9, -v8
	v_fmac_f32_e32 v11, 0x32a5705f, v10
	v_add_f32_e32 v8, 0x3642095e, v8
	v_add_f32_e32 v11, v13, v11
	v_fma_f32 v9, v5, v8, -v9
	v_exp_f32_e32 v11, v11
	v_cvt_i32_f32_e32 v12, v12
	v_add_f32_e32 v9, 0x38907d1c, v9
	v_fma_f32 v8, v5, v9, -v8
	v_add_f32_e32 v8, 0x3b5ccc65, v8
	s_mov_b32 s0, 0xc2ce8ed0
	v_fma_f32 v5, v5, v8, -v9
	v_ldexp_f32 v8, v11, v12
	v_cmp_ngt_f32_e32 vcc, s0, v10
	s_mov_b32 s0, 0x42b17218
	v_cndmask_b32_e32 v8, 0, v8, vcc
	v_mov_b32_e32 v11, 0x7f800000
	v_cmp_nlt_f32_e32 vcc, s0, v10
	s_mov_b32 s0, 0xf800000
	v_cndmask_b32_e32 v8, v11, v8, vcc
	v_mul_f32_e32 v11, 0x4f800000, v10
	v_cmp_gt_f32_e32 vcc, s0, v10
	v_cndmask_b32_e32 v11, v10, v11, vcc
	v_sqrt_f32_e32 v12, v11
	v_add_f32_e32 v5, 0x3f4df315, v5
	v_sub_f32_e32 v5, v5, v9
	v_mul_f32_e32 v5, 0.5, v5
	v_mul_f32_e32 v5, v8, v5
	v_add_u32_e32 v8, -1, v12
	v_fma_f32 v9, -v8, v12, v11
	v_cmp_ge_f32_e64 s[0:1], 0, v9
	v_add_u32_e32 v9, 1, v12
	v_cndmask_b32_e64 v8, v12, v8, s[0:1]
	v_fma_f32 v12, -v9, v12, v11
	v_cmp_lt_f32_e64 s[0:1], 0, v12
	v_cndmask_b32_e64 v8, v8, v9, s[0:1]
	v_mul_f32_e32 v9, 0x37800000, v8
	v_cndmask_b32_e32 v8, v8, v9, vcc
	v_mov_b32_e32 v9, 0x260
	v_cmp_class_f32_e32 vcc, v11, v9
	v_cndmask_b32_e32 v8, v8, v11, vcc
	v_div_scale_f32 v9, s[0:1], v8, v8, v5
	v_rcp_f32_e32 v11, v9
	v_fma_f32 v12, -v9, v11, 1.0
	v_fmac_f32_e32 v11, v12, v11
	v_div_scale_f32 v12, vcc, v5, v8, v5
	v_mul_f32_e32 v13, v12, v11
	v_fma_f32 v14, -v9, v13, v12
	v_fmac_f32_e32 v13, v14, v11
	v_fma_f32 v9, -v9, v13, v12
	v_div_fmas_f32 v9, v9, v11, v13
	v_div_fixup_f32 v5, v9, v8, v5
.LBB19_117:
	s_or_b64 exec, exec, s[10:11]
	v_fma_f32 v8, v10, v10, -2.0
	v_mov_b32_e32 v9, 0x293fd856
	v_fmac_f32_e32 v9, 0x251e770f, v8
	v_mov_b32_e32 v11, 0xa51e770f
	v_fmac_f32_e32 v11, v8, v9
	v_add_f32_e32 v11, 0x2d3612e2, v11
	v_fma_f32 v9, v8, v11, -v9
	v_add_f32_e32 v9, 0x3102e09b, v9
	v_fma_f32 v11, v8, v9, -v11
	;; [unrolled: 2-line block ×7, first 2 shown]
	v_cvt_f64_f32_e32 v[10:11], v10
	v_mul_f64 v[10:11], v[10:11], 0.5
	s_mov_b32 s0, 0x55555555
	v_frexp_mant_f64_e32 v[12:13], v[10:11]
	s_mov_b32 s1, 0x3fe55555
	v_mov_b32_e32 v14, 0x3ff00000
	v_cmp_gt_f64_e32 vcc, s[0:1], v[12:13]
	v_cndmask_b32_e64 v15, v14, 2.0, vcc
	v_mov_b32_e32 v14, 0
	v_mul_f64 v[12:13], v[12:13], v[14:15]
	v_frexp_exp_i32_f64_e32 v16, v[10:11]
	v_add_f64 v[14:15], v[12:13], 1.0
	v_subbrev_co_u32_e32 v26, vcc, 0, v16, vcc
	v_rcp_f64_e32 v[16:17], v[14:15]
	v_add_f64 v[20:21], v[14:15], -1.0
	v_add_f64 v[18:19], v[12:13], -1.0
	v_add_f64 v[12:13], v[12:13], -v[20:21]
	v_fma_f64 v[20:21], -v[14:15], v[16:17], 1.0
	v_fmac_f64_e32 v[16:17], v[20:21], v[16:17]
	v_fma_f64 v[20:21], -v[14:15], v[16:17], 1.0
	v_fmac_f64_e32 v[16:17], v[20:21], v[16:17]
	v_mul_f64 v[20:21], v[18:19], v[16:17]
	v_mul_f64 v[22:23], v[14:15], v[20:21]
	v_fma_f64 v[14:15], v[20:21], v[14:15], -v[22:23]
	v_fmac_f64_e32 v[14:15], v[20:21], v[12:13]
	v_add_f64 v[12:13], v[22:23], v[14:15]
	v_add_f64 v[24:25], v[18:19], -v[12:13]
	v_add_f64 v[22:23], v[12:13], -v[22:23]
	;; [unrolled: 1-line block ×5, first 2 shown]
	v_add_f64 v[12:13], v[14:15], v[12:13]
	v_add_f64 v[12:13], v[24:25], v[12:13]
	v_mul_f64 v[12:13], v[16:17], v[12:13]
	v_add_f64 v[14:15], v[20:21], v[12:13]
	v_add_f64 v[16:17], v[14:15], -v[20:21]
	s_mov_b32 s0, 0xbf559e2b
	v_add_f64 v[12:13], v[12:13], -v[16:17]
	v_mul_f64 v[16:17], v[14:15], v[14:15]
	v_mov_b32_e32 v18, 0x6b47b09a
	v_mov_b32_e32 v19, 0x3fc38538
	s_mov_b32 s1, 0x3fc3ab76
	v_fmac_f64_e32 v[18:19], s[0:1], v[16:17]
	v_mov_b32_e32 v20, 0xd7f4df2e
	v_mov_b32_e32 v21, 0x3fc7474d
	v_fmac_f64_e32 v[20:21], v[16:17], v[18:19]
	v_mov_b32_e32 v18, 0x16291751
	v_mov_b32_e32 v19, 0x3fcc71c0
	;; [unrolled: 3-line block ×5, first 2 shown]
	v_fmac_f64_e32 v[20:21], v[16:17], v[18:19]
	v_ldexp_f64 v[18:19], v[14:15], 1
	v_mul_f64 v[14:15], v[14:15], v[16:17]
	v_mul_f64 v[14:15], v[14:15], v[20:21]
	v_add_f64 v[16:17], v[18:19], v[14:15]
	v_add_f64 v[18:19], v[16:17], -v[18:19]
	v_ldexp_f64 v[12:13], v[12:13], 1
	v_add_f64 v[14:15], v[14:15], -v[18:19]
	v_add_f64 v[12:13], v[12:13], v[14:15]
	v_add_f64 v[14:15], v[16:17], v[12:13]
	v_add_f64 v[16:17], v[14:15], -v[16:17]
	s_mov_b32 s0, 0xfefa39ef
	v_add_f64 v[12:13], v[12:13], -v[16:17]
	v_cvt_f64_i32_e32 v[16:17], v26
	s_mov_b32 s1, 0x3fe62e42
	v_mul_f64 v[18:19], v[16:17], s[0:1]
	v_fma_f64 v[20:21], v[16:17], s[0:1], -v[18:19]
	s_mov_b32 s0, 0x3b39803f
	s_mov_b32 s1, 0x3c7abc9e
	v_fmac_f64_e32 v[20:21], s[0:1], v[16:17]
	v_add_f64 v[16:17], v[18:19], v[20:21]
	v_add_f64 v[18:19], v[16:17], -v[18:19]
	v_add_f64 v[18:19], v[20:21], -v[18:19]
	v_add_f64 v[20:21], v[16:17], v[14:15]
	v_add_f64 v[22:23], v[20:21], -v[16:17]
	v_add_f64 v[24:25], v[20:21], -v[22:23]
	;; [unrolled: 1-line block ×4, first 2 shown]
	v_add_f64 v[14:15], v[14:15], v[16:17]
	v_add_f64 v[16:17], v[18:19], v[12:13]
	v_add_f64 v[22:23], v[16:17], -v[18:19]
	v_add_f64 v[24:25], v[16:17], -v[22:23]
	v_add_f64 v[14:15], v[16:17], v[14:15]
	v_add_f64 v[18:19], v[18:19], -v[24:25]
	v_add_f64 v[12:13], v[12:13], -v[22:23]
	v_add_f64 v[16:17], v[20:21], v[14:15]
	v_add_f64 v[12:13], v[12:13], v[18:19]
	v_add_f64 v[18:19], v[16:17], -v[20:21]
	v_add_f64 v[14:15], v[14:15], -v[18:19]
	s_mov_b32 s0, 0
	v_add_f32_e32 v8, 0xbf090b37, v8
	v_add_f64 v[12:13], v[12:13], v[14:15]
	s_mov_b32 s1, 0x7ff00000
	v_sub_f32_e32 v8, v8, v9
	v_add_f64 v[12:13], v[16:17], v[12:13]
	v_cmp_eq_f64_e32 vcc, s[0:1], v[10:11]
	v_mul_f32_e32 v8, 0.5, v8
	v_cndmask_b32_e32 v12, v12, v10, vcc
	v_cndmask_b32_e32 v13, v13, v11, vcc
	v_mov_b32_e32 v14, 0xfff00000
	v_cmp_neq_f64_e32 vcc, 0, v[10:11]
	v_cvt_f64_f32_e32 v[8:9], v8
	v_cndmask_b32_e32 v11, v14, v13, vcc
	v_cndmask_b32_e32 v10, 0, v12, vcc
	v_cvt_f64_f32_e32 v[12:13], v5
	v_fma_f64 v[8:9], -v[10:11], v[12:13], v[8:9]
	v_cvt_f32_f64_e32 v5, v[8:9]
                                        ; implicit-def: $vgpr10
.LBB19_118:
	s_andn2_saveexec_b64 s[8:9], s[8:9]
	s_cbranch_execz .LBB19_120
; %bb.119:
	s_mov_b32 s10, 0x41000000
	v_div_scale_f32 v5, s[0:1], v10, v10, s10
	v_rcp_f32_e32 v8, v5
	v_div_scale_f32 v9, vcc, s10, v10, s10
	s_mov_b32 s0, 0xbfb8aa3b
	v_fma_f32 v11, -v5, v8, 1.0
	v_fmac_f32_e32 v8, v11, v8
	v_mul_f32_e32 v11, v9, v8
	v_fma_f32 v12, -v5, v11, v9
	v_fmac_f32_e32 v11, v12, v8
	v_fma_f32 v5, -v5, v11, v9
	v_div_fmas_f32 v5, v5, v8, v11
	v_div_fixup_f32 v5, v5, v10, s10
	v_add_f32_e32 v5, -2.0, v5
	v_mov_b32_e32 v8, 0xa397f665
	v_fmac_f32_e32 v8, 0x22c38d2e, v5
	v_mov_b32_e32 v9, 0xa2c38d2e
	v_fmac_f32_e32 v9, v5, v8
	v_add_f32_e32 v9, 0x24704972, v9
	v_fma_f32 v8, v5, v9, -v8
	v_add_f32_e32 v8, 0xa5417ca4, v8
	v_fma_f32 v9, v5, v8, -v9
	v_add_f32_e32 v9, 0x261edfcb, v9
	v_fma_f32 v8, v5, v9, -v8
	v_add_f32_e32 v8, 0xa7053487, v8
	v_fma_f32 v9, v5, v8, -v9
	v_add_f32_e32 v9, 0x27e46ce2, v9
	v_fma_f32 v8, v5, v9, -v8
	v_add_f32_e32 v8, 0xa8c8a2f6, v8
	v_fma_f32 v9, v5, v8, -v9
	v_add_f32_e32 v9, 0x29b4e276, v9
	v_fma_f32 v8, v5, v9, -v8
	v_add_f32_e32 v8, 0xaaa7c3b9, v8
	v_fma_f32 v9, v5, v8, -v9
	v_add_f32_e32 v9, 0x2ba07d19, v9
	v_fma_f32 v8, v5, v9, -v8
	v_add_f32_e32 v8, 0xac9ed7e2, v8
	v_fma_f32 v9, v5, v8, -v9
	v_add_f32_e32 v9, 0x2da34042, v9
	v_fma_f32 v8, v5, v9, -v8
	v_add_f32_e32 v8, 0xaeaefcaf, v8
	v_fma_f32 v9, v5, v8, -v9
	v_add_f32_e32 v9, 0x2fc4ab64, v9
	v_fma_f32 v8, v5, v9, -v8
	v_add_f32_e32 v8, 0xb0e94eb0, v8
	v_fma_f32 v9, v5, v8, -v9
	v_add_f32_e32 v9, 0x32134d00, v9
	v_fma_f32 v8, v5, v9, -v8
	v_add_f32_e32 v8, 0xb3482aa1, v8
	v_fma_f32 v9, v5, v8, -v9
	v_add_f32_e32 v9, 0x34948acc, v9
	v_fma_f32 v8, v5, v9, -v8
	v_add_f32_e32 v8, 0xb5f5daa4, v8
	v_mul_f32_e32 v11, 0xbfb8aa3b, v10
	v_fma_f32 v9, v5, v8, -v9
	v_rndne_f32_e32 v12, v11
	v_add_f32_e32 v9, 0x376a09fe, v9
	v_sub_f32_e32 v13, v11, v12
	v_fma_f32 v11, v10, s0, -v11
	v_fma_f32 v8, v5, v9, -v8
	v_fmac_f32_e32 v11, 0xb2a5705f, v10
	v_add_f32_e32 v8, 0xb906bcbf, v8
	v_add_f32_e32 v11, v13, v11
	v_fma_f32 v9, v5, v8, -v9
	v_exp_f32_e32 v11, v11
	v_cvt_i32_f32_e32 v12, v12
	v_add_f32_e32 v9, 0x3acdc490, v9
	v_fma_f32 v8, v5, v9, -v8
	v_add_f32_e32 v8, 0xbd00cfb9, v8
	s_mov_b32 s0, 0x42ce8ed0
	v_fma_f32 v5, v5, v8, -v9
	v_ldexp_f32 v8, v11, v12
	v_cmp_nlt_f32_e32 vcc, s0, v10
	s_mov_b32 s0, 0xc2b17218
	v_cndmask_b32_e32 v8, 0, v8, vcc
	v_mov_b32_e32 v11, 0x7f800000
	v_cmp_ngt_f32_e32 vcc, s0, v10
	s_mov_b32 s0, 0xf800000
	v_cndmask_b32_e32 v8, v11, v8, vcc
	v_mul_f32_e32 v11, 0x4f800000, v10
	v_cmp_gt_f32_e32 vcc, s0, v10
	v_cndmask_b32_e32 v10, v10, v11, vcc
	v_sqrt_f32_e32 v11, v10
	v_add_f32_e32 v5, 0x401c2ded, v5
	v_sub_f32_e32 v5, v5, v9
	v_mul_f32_e32 v5, 0.5, v5
	v_mul_f32_e32 v5, v8, v5
	v_add_u32_e32 v8, -1, v11
	v_fma_f32 v9, -v8, v11, v10
	v_cmp_ge_f32_e64 s[0:1], 0, v9
	v_add_u32_e32 v9, 1, v11
	v_cndmask_b32_e64 v8, v11, v8, s[0:1]
	v_fma_f32 v11, -v9, v11, v10
	v_cmp_lt_f32_e64 s[0:1], 0, v11
	v_cndmask_b32_e64 v8, v8, v9, s[0:1]
	v_mul_f32_e32 v9, 0x37800000, v8
	v_cndmask_b32_e32 v8, v8, v9, vcc
	v_mov_b32_e32 v9, 0x260
	v_cmp_class_f32_e32 vcc, v10, v9
	v_cndmask_b32_e32 v8, v8, v10, vcc
	v_div_scale_f32 v9, s[0:1], v8, v8, v5
	v_rcp_f32_e32 v10, v9
	v_fma_f32 v11, -v9, v10, 1.0
	v_fmac_f32_e32 v10, v11, v10
	v_div_scale_f32 v11, vcc, v5, v8, v5
	v_mul_f32_e32 v12, v11, v10
	v_fma_f32 v13, -v9, v12, v11
	v_fmac_f32_e32 v12, v13, v10
	v_fma_f32 v9, -v9, v12, v11
	v_div_fmas_f32 v9, v9, v10, v12
	v_div_fixup_f32 v5, v9, v8, v5
.LBB19_120:
	s_or_b64 exec, exec, s[8:9]
.LBB19_121:
	s_or_b64 exec, exec, s[6:7]
.LBB19_122:
	s_or_b64 exec, exec, s[2:3]
	global_store_dword v0, v3, s[4:5]
	global_store_dword v2, v1, s[4:5]
	;; [unrolled: 1-line block ×4, first 2 shown]
	s_endpgm
.LBB19_123:
	s_mov_b32 s51, s50
	v_pk_mov_b32 v[0:1], s[50:51], s[50:51] op_sel:[0,1]
                                        ; implicit-def: $vgpr2
	v_mov_b32_e32 v3, v6
.LBB19_124:
	s_and_b32 s8, s59, 3
	s_cmp_eq_u32 s8, 0
	s_cbranch_scc1 .LBB19_128
; %bb.125:
	s_lshl_b32 s0, s50, 3
	s_add_u32 s0, s0, s4
	s_addc_u32 s1, s5, 0
	s_add_u32 s0, s0, 0xc4
	s_addc_u32 s1, s1, 0
	s_mul_i32 s2, s50, 12
	s_add_u32 s2, s4, s2
	s_addc_u32 s3, s5, 0
.LBB19_126:                             ; =>This Inner Loop Header: Depth=1
	s_load_dwordx2 s[10:11], s[2:3], 0x4
	s_load_dword s9, s[2:3], 0xc
	s_load_dwordx2 s[12:13], s[0:1], 0x0
	v_mov_b32_e32 v2, v1
	s_add_u32 s2, s2, 12
	s_waitcnt lgkmcnt(0)
	v_mul_hi_u32 v1, s11, v3
	v_add_u32_e32 v1, v3, v1
	v_lshrrev_b32_e32 v1, s9, v1
	s_addc_u32 s3, s3, 0
	v_mul_lo_u32 v4, v1, s10
	s_add_u32 s0, s0, 8
	v_sub_u32_e32 v7, v3, v4
	v_mov_b32_e32 v3, v1
	s_addc_u32 s1, s1, 0
	s_add_i32 s8, s8, -1
	v_mad_u64_u32 v[4:5], s[10:11], v7, s13, v[2:3]
	v_mad_u64_u32 v[0:1], s[10:11], v7, s12, v[0:1]
	s_cmp_lg_u32 s8, 0
	v_mov_b32_e32 v1, v4
	s_cbranch_scc1 .LBB19_126
; %bb.127:
	v_mov_b32_e32 v2, v1
.LBB19_128:
	s_cbranch_execnz .LBB19_131
.LBB19_129:
	s_waitcnt lgkmcnt(0)
	v_mul_hi_u32 v0, s37, v6
	v_add_u32_e32 v0, v6, v0
	v_lshrrev_b32_e32 v1, s38, v0
	v_mul_lo_u32 v0, v1, s36
	v_sub_u32_e32 v0, v6, v0
	v_mul_lo_u32 v2, v0, s29
	s_andn2_b64 vcc, exec, s[42:43]
	v_mul_lo_u32 v0, v0, s28
	s_cbranch_vccnz .LBB19_131
; %bb.130:
	v_mul_hi_u32 v3, s40, v1
	v_add_u32_e32 v3, v1, v3
	v_lshrrev_b32_e32 v3, s41, v3
	v_mul_lo_u32 v3, v3, s39
	v_sub_u32_e32 v3, v1, v3
	v_mad_u64_u32 v[0:1], s[0:1], v3, s30, v[0:1]
	v_mad_u64_u32 v[2:3], s[0:1], v3, s31, v[2:3]
.LBB19_131:
	s_waitcnt lgkmcnt(0)
	global_load_dword v1, v2, s[26:27]
	v_mov_b32_e32 v2, 0x7f800000
	s_waitcnt vmcnt(0)
	v_cmp_neq_f32_e32 vcc, 0, v1
	s_and_saveexec_b64 s[2:3], vcc
	s_cbranch_execz .LBB19_143
; %bb.132:
	v_cmp_ngt_f32_e32 vcc, 0, v1
	v_mov_b32_e32 v2, 0x7fc00000
	s_and_saveexec_b64 s[8:9], vcc
	s_cbranch_execz .LBB19_142
; %bb.133:
	v_cmp_ge_f32_e32 vcc, 2.0, v1
                                        ; implicit-def: $vgpr2
	s_and_saveexec_b64 s[0:1], vcc
	s_xor_b64 s[10:11], exec, s[0:1]
	s_cbranch_execz .LBB19_139
; %bb.134:
	s_mov_b32 s0, 0x41000000
	v_cmp_ge_f32_e32 vcc, s0, v1
                                        ; implicit-def: $vgpr7
	s_and_saveexec_b64 s[0:1], vcc
	s_xor_b64 s[0:1], exec, s[0:1]
	s_cbranch_execz .LBB19_136
; %bb.135:
	v_fma_f32 v2, v1, 0.5, -2.0
	v_mov_b32_e32 v3, 0x24199b15
	v_fmac_f32_e32 v3, 0xa2a2e5b9, v2
	v_mov_b32_e32 v4, 0x22a2e5b9
	v_fmac_f32_e32 v4, v2, v3
	v_add_f32_e32 v4, 0xa58c275c, v4
	v_fma_f32 v3, v2, v4, -v3
	v_add_f32_e32 v3, 0x26f736c5, v3
	v_fma_f32 v4, v2, v3, -v4
	;; [unrolled: 2-line block ×23, first 2 shown]
	v_mul_f32_e32 v5, 0x3fb8aa3b, v1
	v_add_f32_e32 v3, 0x3d49f456, v3
	s_mov_b32 s12, 0x3fb8aa3b
	v_rndne_f32_e32 v7, v5
	v_fma_f32 v4, v2, v3, -v4
	v_sub_f32_e32 v8, v5, v7
	v_fma_f32 v5, v1, s12, -v5
	v_add_f32_e32 v4, 0xbdc25b82, v4
	v_fmac_f32_e32 v5, 0x32a5705f, v1
	v_fma_f32 v3, v2, v4, -v3
	v_add_f32_e32 v5, v8, v5
	v_add_f32_e32 v3, 0x3e2fbd64, v3
	v_exp_f32_e32 v5, v5
	v_cvt_i32_f32_e32 v7, v7
	v_fma_f32 v4, v2, v3, -v4
	v_add_f32_e32 v4, 0xbe9bff5e, v4
	v_fma_f32 v2, v2, v4, -v3
	s_mov_b32 s12, 0xc2ce8ed0
	v_add_f32_e32 v2, 0x3f2d4275, v2
	v_ldexp_f32 v4, v5, v7
	v_cmp_ngt_f32_e32 vcc, s12, v1
	s_mov_b32 s12, 0x42b17218
	v_cndmask_b32_e32 v4, 0, v4, vcc
	v_mov_b32_e32 v5, 0x7f800000
	v_cmp_nlt_f32_e32 vcc, s12, v1
	v_sub_f32_e32 v2, v2, v3
	v_cndmask_b32_e32 v4, v5, v4, vcc
	v_mul_f32_e32 v2, 0.5, v2
	v_mul_f32_e32 v7, v4, v2
.LBB19_136:
	s_andn2_saveexec_b64 s[12:13], s[0:1]
	s_cbranch_execz .LBB19_138
; %bb.137:
	s_mov_b32 s14, 0x42000000
	v_div_scale_f32 v2, s[0:1], v1, v1, s14
	v_rcp_f32_e32 v3, v2
	v_div_scale_f32 v4, vcc, s14, v1, s14
	s_mov_b32 s0, 0x3fb8aa3b
	v_fma_f32 v5, -v2, v3, 1.0
	v_fmac_f32_e32 v3, v5, v3
	v_mul_f32_e32 v5, v4, v3
	v_fma_f32 v7, -v2, v5, v4
	v_fmac_f32_e32 v5, v7, v3
	v_fma_f32 v2, -v2, v5, v4
	v_div_fmas_f32 v2, v2, v3, v5
	v_div_fixup_f32 v2, v2, v1, s14
	v_add_f32_e32 v2, -2.0, v2
	v_mov_b32_e32 v3, 0xa2b236d3
	v_fmac_f32_e32 v3, 0xa3056dbb, v2
	v_mov_b32_e32 v4, 0x23056dbb
	v_fmac_f32_e32 v4, v2, v3
	v_add_f32_e32 v4, 0x244df0c1, v4
	v_fma_f32 v3, v2, v4, -v3
	v_add_f32_e32 v3, 0x241f9ee8, v3
	v_fma_f32 v4, v2, v3, -v4
	;; [unrolled: 2-line block ×17, first 2 shown]
	v_add_f32_e32 v3, 0x32c2b494, v3
	v_mul_f32_e32 v5, 0x3fb8aa3b, v1
	v_fma_f32 v4, v2, v3, -v4
	v_rndne_f32_e32 v7, v5
	v_add_f32_e32 v4, 0x345c003f, v4
	v_sub_f32_e32 v8, v5, v7
	v_fma_f32 v5, v1, s0, -v5
	v_fma_f32 v3, v2, v4, -v3
	v_fmac_f32_e32 v5, 0x32a5705f, v1
	v_add_f32_e32 v3, 0x3642095e, v3
	v_add_f32_e32 v5, v8, v5
	v_fma_f32 v4, v2, v3, -v4
	v_exp_f32_e32 v5, v5
	v_cvt_i32_f32_e32 v7, v7
	v_add_f32_e32 v4, 0x38907d1c, v4
	v_fma_f32 v3, v2, v4, -v3
	v_add_f32_e32 v3, 0x3b5ccc65, v3
	s_mov_b32 s0, 0xc2ce8ed0
	v_fma_f32 v2, v2, v3, -v4
	v_ldexp_f32 v3, v5, v7
	v_cmp_ngt_f32_e32 vcc, s0, v1
	s_mov_b32 s0, 0x42b17218
	v_cndmask_b32_e32 v3, 0, v3, vcc
	v_mov_b32_e32 v5, 0x7f800000
	v_cmp_nlt_f32_e32 vcc, s0, v1
	s_mov_b32 s0, 0xf800000
	v_cndmask_b32_e32 v3, v5, v3, vcc
	v_mul_f32_e32 v5, 0x4f800000, v1
	v_cmp_gt_f32_e32 vcc, s0, v1
	v_cndmask_b32_e32 v5, v1, v5, vcc
	v_sqrt_f32_e32 v7, v5
	v_add_f32_e32 v2, 0x3f4df315, v2
	v_sub_f32_e32 v2, v2, v4
	v_mul_f32_e32 v2, 0.5, v2
	v_mul_f32_e32 v2, v3, v2
	v_add_u32_e32 v3, -1, v7
	v_fma_f32 v4, -v3, v7, v5
	v_cmp_ge_f32_e64 s[0:1], 0, v4
	v_add_u32_e32 v4, 1, v7
	v_cndmask_b32_e64 v3, v7, v3, s[0:1]
	v_fma_f32 v7, -v4, v7, v5
	v_cmp_lt_f32_e64 s[0:1], 0, v7
	v_cndmask_b32_e64 v3, v3, v4, s[0:1]
	v_mul_f32_e32 v4, 0x37800000, v3
	v_cndmask_b32_e32 v3, v3, v4, vcc
	v_mov_b32_e32 v4, 0x260
	v_cmp_class_f32_e32 vcc, v5, v4
	v_cndmask_b32_e32 v3, v3, v5, vcc
	v_div_scale_f32 v4, s[0:1], v3, v3, v2
	v_rcp_f32_e32 v5, v4
	v_fma_f32 v7, -v4, v5, 1.0
	v_fmac_f32_e32 v5, v7, v5
	v_div_scale_f32 v7, vcc, v2, v3, v2
	v_mul_f32_e32 v8, v7, v5
	v_fma_f32 v9, -v4, v8, v7
	v_fmac_f32_e32 v8, v9, v5
	v_fma_f32 v4, -v4, v8, v7
	v_div_fmas_f32 v4, v4, v5, v8
	v_div_fixup_f32 v7, v4, v3, v2
.LBB19_138:
	s_or_b64 exec, exec, s[12:13]
	v_fma_f32 v2, v1, v1, -2.0
	v_mov_b32_e32 v3, 0x293fd856
	v_fmac_f32_e32 v3, 0x251e770f, v2
	v_mov_b32_e32 v4, 0xa51e770f
	v_fmac_f32_e32 v4, v2, v3
	v_add_f32_e32 v4, 0x2d3612e2, v4
	v_fma_f32 v3, v2, v4, -v3
	v_add_f32_e32 v3, 0x3102e09b, v3
	v_fma_f32 v4, v2, v3, -v4
	;; [unrolled: 2-line block ×7, first 2 shown]
	v_cvt_f64_f32_e32 v[4:5], v1
	v_mul_f64 v[4:5], v[4:5], 0.5
	s_mov_b32 s0, 0x55555555
	v_frexp_mant_f64_e32 v[8:9], v[4:5]
	s_mov_b32 s1, 0x3fe55555
	v_mov_b32_e32 v10, 0x3ff00000
	v_cmp_gt_f64_e32 vcc, s[0:1], v[8:9]
	v_cndmask_b32_e64 v11, v10, 2.0, vcc
	v_mov_b32_e32 v10, 0
	v_mul_f64 v[8:9], v[8:9], v[10:11]
	v_add_f64 v[10:11], v[8:9], 1.0
	v_rcp_f64_e32 v[12:13], v[10:11]
	v_add_f64 v[16:17], v[10:11], -1.0
	v_add_f64 v[14:15], v[8:9], -1.0
	v_add_f64 v[8:9], v[8:9], -v[16:17]
	v_fma_f64 v[16:17], -v[10:11], v[12:13], 1.0
	v_fmac_f64_e32 v[12:13], v[16:17], v[12:13]
	v_fma_f64 v[16:17], -v[10:11], v[12:13], 1.0
	v_fmac_f64_e32 v[12:13], v[16:17], v[12:13]
	v_mul_f64 v[16:17], v[14:15], v[12:13]
	v_mul_f64 v[18:19], v[10:11], v[16:17]
	v_fma_f64 v[10:11], v[16:17], v[10:11], -v[18:19]
	v_fmac_f64_e32 v[10:11], v[16:17], v[8:9]
	v_add_f64 v[8:9], v[18:19], v[10:11]
	v_add_f64 v[20:21], v[14:15], -v[8:9]
	v_add_f64 v[18:19], v[8:9], -v[18:19]
	;; [unrolled: 1-line block ×5, first 2 shown]
	v_add_f64 v[8:9], v[10:11], v[8:9]
	v_add_f64 v[8:9], v[20:21], v[8:9]
	v_mul_f64 v[8:9], v[12:13], v[8:9]
	v_add_f64 v[10:11], v[16:17], v[8:9]
	v_add_f64 v[12:13], v[10:11], -v[16:17]
	s_mov_b32 s0, 0xbf559e2b
	v_add_f64 v[8:9], v[8:9], -v[12:13]
	v_mul_f64 v[12:13], v[10:11], v[10:11]
	v_mov_b32_e32 v14, 0x6b47b09a
	v_mov_b32_e32 v15, 0x3fc38538
	s_mov_b32 s1, 0x3fc3ab76
	v_fmac_f64_e32 v[14:15], s[0:1], v[12:13]
	v_mov_b32_e32 v16, 0xd7f4df2e
	v_mov_b32_e32 v17, 0x3fc7474d
	v_fmac_f64_e32 v[16:17], v[12:13], v[14:15]
	v_mov_b32_e32 v14, 0x16291751
	v_mov_b32_e32 v15, 0x3fcc71c0
	;; [unrolled: 3-line block ×5, first 2 shown]
	v_fmac_f64_e32 v[16:17], v[12:13], v[14:15]
	v_ldexp_f64 v[14:15], v[10:11], 1
	v_mul_f64 v[10:11], v[10:11], v[12:13]
	v_mul_f64 v[10:11], v[10:11], v[16:17]
	v_add_f64 v[12:13], v[14:15], v[10:11]
	v_add_f64 v[14:15], v[12:13], -v[14:15]
	v_ldexp_f64 v[8:9], v[8:9], 1
	v_add_f64 v[10:11], v[10:11], -v[14:15]
	v_add_f64 v[8:9], v[8:9], v[10:11]
	v_frexp_exp_i32_f64_e32 v1, v[4:5]
	v_add_f64 v[10:11], v[12:13], v[8:9]
	v_subbrev_co_u32_e32 v1, vcc, 0, v1, vcc
	v_add_f64 v[12:13], v[10:11], -v[12:13]
	s_mov_b32 s0, 0xfefa39ef
	v_add_f64 v[8:9], v[8:9], -v[12:13]
	v_cvt_f64_i32_e32 v[12:13], v1
	s_mov_b32 s1, 0x3fe62e42
	v_mul_f64 v[14:15], v[12:13], s[0:1]
	v_fma_f64 v[16:17], v[12:13], s[0:1], -v[14:15]
	s_mov_b32 s0, 0x3b39803f
	s_mov_b32 s1, 0x3c7abc9e
	v_fmac_f64_e32 v[16:17], s[0:1], v[12:13]
	v_add_f64 v[12:13], v[14:15], v[16:17]
	v_add_f64 v[14:15], v[12:13], -v[14:15]
	v_add_f64 v[14:15], v[16:17], -v[14:15]
	v_add_f64 v[16:17], v[12:13], v[10:11]
	v_add_f64 v[18:19], v[16:17], -v[12:13]
	v_add_f64 v[20:21], v[16:17], -v[18:19]
	;; [unrolled: 1-line block ×4, first 2 shown]
	v_add_f64 v[10:11], v[10:11], v[12:13]
	v_add_f64 v[12:13], v[14:15], v[8:9]
	v_add_f64 v[18:19], v[12:13], -v[14:15]
	v_add_f64 v[20:21], v[12:13], -v[18:19]
	v_add_f64 v[10:11], v[12:13], v[10:11]
	v_add_f64 v[14:15], v[14:15], -v[20:21]
	v_add_f64 v[8:9], v[8:9], -v[18:19]
	v_add_f64 v[12:13], v[16:17], v[10:11]
	v_add_f64 v[8:9], v[8:9], v[14:15]
	v_add_f64 v[14:15], v[12:13], -v[16:17]
	v_add_f64 v[10:11], v[10:11], -v[14:15]
	s_mov_b32 s0, 0
	v_add_f32_e32 v2, 0xbf090b37, v2
	v_add_f64 v[8:9], v[8:9], v[10:11]
	s_mov_b32 s1, 0x7ff00000
	v_sub_f32_e32 v2, v2, v3
	v_add_f64 v[8:9], v[12:13], v[8:9]
	v_cmp_eq_f64_e32 vcc, s[0:1], v[4:5]
	v_mul_f32_e32 v2, 0.5, v2
	v_cndmask_b32_e32 v1, v8, v4, vcc
	v_cndmask_b32_e32 v8, v9, v5, vcc
	v_mov_b32_e32 v9, 0xfff00000
	v_cmp_neq_f64_e32 vcc, 0, v[4:5]
	v_cvt_f64_f32_e32 v[2:3], v2
	v_cndmask_b32_e32 v5, v9, v8, vcc
	v_cndmask_b32_e32 v4, 0, v1, vcc
	v_cvt_f64_f32_e32 v[8:9], v7
	v_fma_f64 v[2:3], -v[4:5], v[8:9], v[2:3]
	v_cvt_f32_f64_e32 v2, v[2:3]
                                        ; implicit-def: $vgpr1
.LBB19_139:
	s_andn2_saveexec_b64 s[10:11], s[10:11]
	s_cbranch_execz .LBB19_141
; %bb.140:
	s_mov_b32 s12, 0x41000000
	v_div_scale_f32 v2, s[0:1], v1, v1, s12
	v_rcp_f32_e32 v3, v2
	v_div_scale_f32 v4, vcc, s12, v1, s12
	s_mov_b32 s0, 0xbfb8aa3b
	v_fma_f32 v5, -v2, v3, 1.0
	v_fmac_f32_e32 v3, v5, v3
	v_mul_f32_e32 v5, v4, v3
	v_fma_f32 v7, -v2, v5, v4
	v_fmac_f32_e32 v5, v7, v3
	v_fma_f32 v2, -v2, v5, v4
	v_div_fmas_f32 v2, v2, v3, v5
	v_div_fixup_f32 v2, v2, v1, s12
	v_add_f32_e32 v2, -2.0, v2
	v_mov_b32_e32 v3, 0xa397f665
	v_fmac_f32_e32 v3, 0x22c38d2e, v2
	v_mov_b32_e32 v4, 0xa2c38d2e
	v_fmac_f32_e32 v4, v2, v3
	v_add_f32_e32 v4, 0x24704972, v4
	v_fma_f32 v3, v2, v4, -v3
	v_add_f32_e32 v3, 0xa5417ca4, v3
	v_fma_f32 v4, v2, v3, -v4
	;; [unrolled: 2-line block ×17, first 2 shown]
	v_add_f32_e32 v3, 0xb5f5daa4, v3
	v_mul_f32_e32 v5, 0xbfb8aa3b, v1
	v_fma_f32 v4, v2, v3, -v4
	v_rndne_f32_e32 v7, v5
	v_add_f32_e32 v4, 0x376a09fe, v4
	v_sub_f32_e32 v8, v5, v7
	v_fma_f32 v5, v1, s0, -v5
	v_fma_f32 v3, v2, v4, -v3
	v_fmac_f32_e32 v5, 0xb2a5705f, v1
	v_add_f32_e32 v3, 0xb906bcbf, v3
	v_add_f32_e32 v5, v8, v5
	v_fma_f32 v4, v2, v3, -v4
	v_exp_f32_e32 v5, v5
	v_cvt_i32_f32_e32 v7, v7
	v_add_f32_e32 v4, 0x3acdc490, v4
	v_fma_f32 v3, v2, v4, -v3
	v_add_f32_e32 v3, 0xbd00cfb9, v3
	s_mov_b32 s0, 0x42ce8ed0
	v_fma_f32 v2, v2, v3, -v4
	v_ldexp_f32 v3, v5, v7
	v_cmp_nlt_f32_e32 vcc, s0, v1
	s_mov_b32 s0, 0xc2b17218
	v_cndmask_b32_e32 v3, 0, v3, vcc
	v_mov_b32_e32 v5, 0x7f800000
	v_cmp_ngt_f32_e32 vcc, s0, v1
	s_mov_b32 s0, 0xf800000
	v_cndmask_b32_e32 v3, v5, v3, vcc
	v_mul_f32_e32 v5, 0x4f800000, v1
	v_cmp_gt_f32_e32 vcc, s0, v1
	v_cndmask_b32_e32 v1, v1, v5, vcc
	v_sqrt_f32_e32 v5, v1
	v_add_f32_e32 v2, 0x401c2ded, v2
	v_sub_f32_e32 v2, v2, v4
	v_mul_f32_e32 v2, 0.5, v2
	v_mul_f32_e32 v2, v3, v2
	v_add_u32_e32 v3, -1, v5
	v_fma_f32 v4, -v3, v5, v1
	v_cmp_ge_f32_e64 s[0:1], 0, v4
	v_add_u32_e32 v4, 1, v5
	v_cndmask_b32_e64 v3, v5, v3, s[0:1]
	v_fma_f32 v5, -v4, v5, v1
	v_cmp_lt_f32_e64 s[0:1], 0, v5
	v_cndmask_b32_e64 v3, v3, v4, s[0:1]
	v_mul_f32_e32 v4, 0x37800000, v3
	v_cndmask_b32_e32 v3, v3, v4, vcc
	v_mov_b32_e32 v4, 0x260
	v_cmp_class_f32_e32 vcc, v1, v4
	v_cndmask_b32_e32 v1, v3, v1, vcc
	v_div_scale_f32 v3, s[0:1], v1, v1, v2
	v_rcp_f32_e32 v4, v3
	v_fma_f32 v5, -v3, v4, 1.0
	v_fmac_f32_e32 v4, v5, v4
	v_div_scale_f32 v5, vcc, v2, v1, v2
	v_mul_f32_e32 v7, v5, v4
	v_fma_f32 v8, -v3, v7, v5
	v_fmac_f32_e32 v7, v8, v4
	v_fma_f32 v3, -v3, v7, v5
	v_div_fmas_f32 v3, v3, v4, v7
	v_div_fixup_f32 v2, v3, v1, v2
.LBB19_141:
	s_or_b64 exec, exec, s[10:11]
.LBB19_142:
	s_or_b64 exec, exec, s[8:9]
.LBB19_143:
	s_or_b64 exec, exec, s[2:3]
	v_add_u32_e32 v6, 0x80, v6
	global_store_dword v0, v2, s[24:25]
	s_or_b64 exec, exec, s[48:49]
	v_cmp_gt_i32_e32 vcc, s57, v6
	s_and_saveexec_b64 s[48:49], vcc
	s_cbranch_execnz .LBB19_17
.LBB19_144:
	s_or_b64 exec, exec, s[48:49]
	v_cmp_gt_i32_e32 vcc, s57, v6
	s_and_saveexec_b64 s[48:49], vcc
	s_cbranch_execz .LBB19_173
.LBB19_145:
	s_andn2_b64 vcc, exec, s[6:7]
	s_cbranch_vccnz .LBB19_151
; %bb.146:
	s_mov_b32 s50, 0
	s_andn2_b64 vcc, exec, s[46:47]
	v_mov_b32_e32 v2, 0
	v_mov_b32_e32 v0, 0
	s_cbranch_vccnz .LBB19_181
; %bb.147:
	s_add_i32 s59, s58, 1
	s_cmp_eq_u32 s56, 2
	s_cbranch_scc1 .LBB19_176
; %bb.148:
	s_and_b32 s50, s59, 28
	s_mov_b32 s51, 0
	v_mov_b32_e32 v0, 0
	s_mov_b64 s[52:53], s[4:5]
	s_mov_b64 s[54:55], s[44:45]
	v_mov_b32_e32 v3, v6
	v_mov_b32_e32 v2, 0
.LBB19_149:                             ; =>This Inner Loop Header: Depth=1
	s_load_dwordx8 s[16:23], s[52:53], 0x4
	s_load_dwordx4 s[0:3], s[52:53], 0x24
	s_load_dwordx8 s[8:15], s[54:55], 0x0
	s_add_u32 s52, s52, 48
	s_addc_u32 s53, s53, 0
	s_waitcnt lgkmcnt(0)
	v_mul_hi_u32 v1, s17, v3
	v_add_u32_e32 v1, v3, v1
	v_lshrrev_b32_e32 v1, s18, v1
	v_mul_lo_u32 v4, v1, s16
	v_mul_hi_u32 v5, s20, v1
	v_sub_u32_e32 v3, v3, v4
	v_add_u32_e32 v4, v1, v5
	v_lshrrev_b32_e32 v4, s21, v4
	v_mul_lo_u32 v7, v4, s19
	v_mul_hi_u32 v8, s23, v4
	v_sub_u32_e32 v1, v1, v7
	v_add_u32_e32 v7, v4, v8
	v_mul_lo_u32 v5, v3, s9
	v_mul_lo_u32 v3, v3, s8
	;; [unrolled: 1-line block ×4, first 2 shown]
	v_lshrrev_b32_e32 v7, s0, v7
	v_add3_u32 v0, v3, v0, v1
	v_mul_hi_u32 v3, s2, v7
	v_add_u32_e32 v3, v7, v3
	v_lshrrev_b32_e32 v3, s3, v3
	s_add_i32 s51, s51, 4
	v_add3_u32 v1, v5, v2, v8
	v_mul_lo_u32 v2, v7, s22
	v_mul_lo_u32 v5, v3, s1
	s_add_u32 s54, s54, 32
	v_sub_u32_e32 v2, v4, v2
	v_sub_u32_e32 v5, v7, v5
	s_addc_u32 s55, s55, 0
	v_mul_lo_u32 v4, v2, s12
	v_mul_lo_u32 v2, v2, s13
	;; [unrolled: 1-line block ×4, first 2 shown]
	s_cmp_eq_u32 s50, s51
	v_add3_u32 v2, v2, v1, v5
	v_add3_u32 v0, v4, v0, v7
	s_cbranch_scc0 .LBB19_149
; %bb.150:
	v_mov_b32_e32 v1, v2
	s_branch .LBB19_177
.LBB19_151:
                                        ; implicit-def: $vgpr2
                                        ; implicit-def: $vgpr0
	s_branch .LBB19_182
.LBB19_152:
	s_mov_b32 s51, s50
	v_pk_mov_b32 v[0:1], s[50:51], s[50:51] op_sel:[0,1]
                                        ; implicit-def: $vgpr2
	v_mov_b32_e32 v3, v6
.LBB19_153:
	s_and_b32 s8, s59, 3
	s_cmp_eq_u32 s8, 0
	s_cbranch_scc1 .LBB19_157
; %bb.154:
	s_lshl_b32 s0, s50, 3
	s_add_u32 s0, s0, s4
	s_addc_u32 s1, s5, 0
	s_add_u32 s0, s0, 0xc4
	s_addc_u32 s1, s1, 0
	s_mul_i32 s2, s50, 12
	s_add_u32 s2, s4, s2
	s_addc_u32 s3, s5, 0
.LBB19_155:                             ; =>This Inner Loop Header: Depth=1
	s_load_dwordx2 s[10:11], s[2:3], 0x4
	s_load_dword s9, s[2:3], 0xc
	s_load_dwordx2 s[12:13], s[0:1], 0x0
	v_mov_b32_e32 v2, v1
	s_add_u32 s2, s2, 12
	s_waitcnt lgkmcnt(0)
	v_mul_hi_u32 v1, s11, v3
	v_add_u32_e32 v1, v3, v1
	v_lshrrev_b32_e32 v1, s9, v1
	s_addc_u32 s3, s3, 0
	v_mul_lo_u32 v4, v1, s10
	s_add_u32 s0, s0, 8
	v_sub_u32_e32 v7, v3, v4
	v_mov_b32_e32 v3, v1
	s_addc_u32 s1, s1, 0
	s_add_i32 s8, s8, -1
	v_mad_u64_u32 v[4:5], s[10:11], v7, s13, v[2:3]
	v_mad_u64_u32 v[0:1], s[10:11], v7, s12, v[0:1]
	s_cmp_lg_u32 s8, 0
	v_mov_b32_e32 v1, v4
	s_cbranch_scc1 .LBB19_155
; %bb.156:
	v_mov_b32_e32 v2, v1
.LBB19_157:
	s_cbranch_execnz .LBB19_160
.LBB19_158:
	s_waitcnt lgkmcnt(0)
	v_mul_hi_u32 v0, s37, v6
	v_add_u32_e32 v0, v6, v0
	v_lshrrev_b32_e32 v1, s38, v0
	v_mul_lo_u32 v0, v1, s36
	v_sub_u32_e32 v0, v6, v0
	v_mul_lo_u32 v2, v0, s29
	s_andn2_b64 vcc, exec, s[42:43]
	v_mul_lo_u32 v0, v0, s28
	s_cbranch_vccnz .LBB19_160
; %bb.159:
	v_mul_hi_u32 v3, s40, v1
	v_add_u32_e32 v3, v1, v3
	v_lshrrev_b32_e32 v3, s41, v3
	v_mul_lo_u32 v3, v3, s39
	v_sub_u32_e32 v3, v1, v3
	v_mad_u64_u32 v[0:1], s[0:1], v3, s30, v[0:1]
	v_mad_u64_u32 v[2:3], s[0:1], v3, s31, v[2:3]
.LBB19_160:
	s_waitcnt lgkmcnt(0)
	global_load_dword v1, v2, s[26:27]
	v_mov_b32_e32 v2, 0x7f800000
	s_waitcnt vmcnt(0)
	v_cmp_neq_f32_e32 vcc, 0, v1
	s_and_saveexec_b64 s[2:3], vcc
	s_cbranch_execz .LBB19_172
; %bb.161:
	v_cmp_ngt_f32_e32 vcc, 0, v1
	v_mov_b32_e32 v2, 0x7fc00000
	s_and_saveexec_b64 s[8:9], vcc
	s_cbranch_execz .LBB19_171
; %bb.162:
	v_cmp_ge_f32_e32 vcc, 2.0, v1
                                        ; implicit-def: $vgpr2
	s_and_saveexec_b64 s[0:1], vcc
	s_xor_b64 s[10:11], exec, s[0:1]
	s_cbranch_execz .LBB19_168
; %bb.163:
	s_mov_b32 s0, 0x41000000
	v_cmp_ge_f32_e32 vcc, s0, v1
                                        ; implicit-def: $vgpr7
	s_and_saveexec_b64 s[0:1], vcc
	s_xor_b64 s[0:1], exec, s[0:1]
	s_cbranch_execz .LBB19_165
; %bb.164:
	v_fma_f32 v2, v1, 0.5, -2.0
	v_mov_b32_e32 v3, 0x24199b15
	v_fmac_f32_e32 v3, 0xa2a2e5b9, v2
	v_mov_b32_e32 v4, 0x22a2e5b9
	v_fmac_f32_e32 v4, v2, v3
	v_add_f32_e32 v4, 0xa58c275c, v4
	v_fma_f32 v3, v2, v4, -v3
	v_add_f32_e32 v3, 0x26f736c5, v3
	v_fma_f32 v4, v2, v3, -v4
	;; [unrolled: 2-line block ×23, first 2 shown]
	v_mul_f32_e32 v5, 0x3fb8aa3b, v1
	v_add_f32_e32 v3, 0x3d49f456, v3
	s_mov_b32 s12, 0x3fb8aa3b
	v_rndne_f32_e32 v7, v5
	v_fma_f32 v4, v2, v3, -v4
	v_sub_f32_e32 v8, v5, v7
	v_fma_f32 v5, v1, s12, -v5
	v_add_f32_e32 v4, 0xbdc25b82, v4
	v_fmac_f32_e32 v5, 0x32a5705f, v1
	v_fma_f32 v3, v2, v4, -v3
	v_add_f32_e32 v5, v8, v5
	v_add_f32_e32 v3, 0x3e2fbd64, v3
	v_exp_f32_e32 v5, v5
	v_cvt_i32_f32_e32 v7, v7
	v_fma_f32 v4, v2, v3, -v4
	v_add_f32_e32 v4, 0xbe9bff5e, v4
	v_fma_f32 v2, v2, v4, -v3
	s_mov_b32 s12, 0xc2ce8ed0
	v_add_f32_e32 v2, 0x3f2d4275, v2
	v_ldexp_f32 v4, v5, v7
	v_cmp_ngt_f32_e32 vcc, s12, v1
	s_mov_b32 s12, 0x42b17218
	v_cndmask_b32_e32 v4, 0, v4, vcc
	v_mov_b32_e32 v5, 0x7f800000
	v_cmp_nlt_f32_e32 vcc, s12, v1
	v_sub_f32_e32 v2, v2, v3
	v_cndmask_b32_e32 v4, v5, v4, vcc
	v_mul_f32_e32 v2, 0.5, v2
	v_mul_f32_e32 v7, v4, v2
.LBB19_165:
	s_andn2_saveexec_b64 s[12:13], s[0:1]
	s_cbranch_execz .LBB19_167
; %bb.166:
	s_mov_b32 s14, 0x42000000
	v_div_scale_f32 v2, s[0:1], v1, v1, s14
	v_rcp_f32_e32 v3, v2
	v_div_scale_f32 v4, vcc, s14, v1, s14
	s_mov_b32 s0, 0x3fb8aa3b
	v_fma_f32 v5, -v2, v3, 1.0
	v_fmac_f32_e32 v3, v5, v3
	v_mul_f32_e32 v5, v4, v3
	v_fma_f32 v7, -v2, v5, v4
	v_fmac_f32_e32 v5, v7, v3
	v_fma_f32 v2, -v2, v5, v4
	v_div_fmas_f32 v2, v2, v3, v5
	v_div_fixup_f32 v2, v2, v1, s14
	v_add_f32_e32 v2, -2.0, v2
	v_mov_b32_e32 v3, 0xa2b236d3
	v_fmac_f32_e32 v3, 0xa3056dbb, v2
	v_mov_b32_e32 v4, 0x23056dbb
	v_fmac_f32_e32 v4, v2, v3
	v_add_f32_e32 v4, 0x244df0c1, v4
	v_fma_f32 v3, v2, v4, -v3
	v_add_f32_e32 v3, 0x241f9ee8, v3
	v_fma_f32 v4, v2, v3, -v4
	v_add_f32_e32 v4, 0xa5a3005d, v4
	v_fma_f32 v3, v2, v4, -v3
	v_add_f32_e32 v3, 0xa5c5773f, v3
	v_fma_f32 v4, v2, v3, -v4
	v_add_f32_e32 v4, 0x26ff73ed, v4
	v_fma_f32 v3, v2, v4, -v3
	v_add_f32_e32 v3, 0x2789548d, v3
	v_fma_f32 v4, v2, v3, -v4
	v_add_f32_e32 v4, 0xa82c1ff4, v4
	v_fma_f32 v3, v2, v4, -v3
	v_add_f32_e32 v3, 0xa93aecce, v3
	v_fma_f32 v4, v2, v3, -v4
	v_add_f32_e32 v4, 0x288ab7f8, v4
	v_fma_f32 v3, v2, v4, -v3
	v_add_f32_e32 v3, 0x2ad8e463, v3
	v_fma_f32 v4, v2, v3, -v4
	v_add_f32_e32 v4, 0x2b4a1a40, v4
	v_fma_f32 v3, v2, v4, -v3
	v_add_f32_e32 v3, 0xabfc8218, v3
	v_fma_f32 v4, v2, v3, -v4
	v_add_f32_e32 v4, 0xad687eba, v4
	v_fma_f32 v3, v2, v4, -v3
	v_add_f32_e32 v3, 0xae0a88e8, v3
	v_fma_f32 v4, v2, v3, -v4
	v_add_f32_e32 v4, 0x2d5127f5, v4
	v_fma_f32 v3, v2, v4, -v3
	v_add_f32_e32 v3, 0x3007ce66, v3
	v_fma_f32 v4, v2, v3, -v4
	v_add_f32_e32 v4, 0x31696325, v4
	v_fma_f32 v3, v2, v4, -v3
	v_add_f32_e32 v3, 0x32c2b494, v3
	v_mul_f32_e32 v5, 0x3fb8aa3b, v1
	v_fma_f32 v4, v2, v3, -v4
	v_rndne_f32_e32 v7, v5
	v_add_f32_e32 v4, 0x345c003f, v4
	v_sub_f32_e32 v8, v5, v7
	v_fma_f32 v5, v1, s0, -v5
	v_fma_f32 v3, v2, v4, -v3
	v_fmac_f32_e32 v5, 0x32a5705f, v1
	v_add_f32_e32 v3, 0x3642095e, v3
	v_add_f32_e32 v5, v8, v5
	v_fma_f32 v4, v2, v3, -v4
	v_exp_f32_e32 v5, v5
	v_cvt_i32_f32_e32 v7, v7
	v_add_f32_e32 v4, 0x38907d1c, v4
	v_fma_f32 v3, v2, v4, -v3
	v_add_f32_e32 v3, 0x3b5ccc65, v3
	s_mov_b32 s0, 0xc2ce8ed0
	v_fma_f32 v2, v2, v3, -v4
	v_ldexp_f32 v3, v5, v7
	v_cmp_ngt_f32_e32 vcc, s0, v1
	s_mov_b32 s0, 0x42b17218
	v_cndmask_b32_e32 v3, 0, v3, vcc
	v_mov_b32_e32 v5, 0x7f800000
	v_cmp_nlt_f32_e32 vcc, s0, v1
	s_mov_b32 s0, 0xf800000
	v_cndmask_b32_e32 v3, v5, v3, vcc
	v_mul_f32_e32 v5, 0x4f800000, v1
	v_cmp_gt_f32_e32 vcc, s0, v1
	v_cndmask_b32_e32 v5, v1, v5, vcc
	v_sqrt_f32_e32 v7, v5
	v_add_f32_e32 v2, 0x3f4df315, v2
	v_sub_f32_e32 v2, v2, v4
	v_mul_f32_e32 v2, 0.5, v2
	v_mul_f32_e32 v2, v3, v2
	v_add_u32_e32 v3, -1, v7
	v_fma_f32 v4, -v3, v7, v5
	v_cmp_ge_f32_e64 s[0:1], 0, v4
	v_add_u32_e32 v4, 1, v7
	v_cndmask_b32_e64 v3, v7, v3, s[0:1]
	v_fma_f32 v7, -v4, v7, v5
	v_cmp_lt_f32_e64 s[0:1], 0, v7
	v_cndmask_b32_e64 v3, v3, v4, s[0:1]
	v_mul_f32_e32 v4, 0x37800000, v3
	v_cndmask_b32_e32 v3, v3, v4, vcc
	v_mov_b32_e32 v4, 0x260
	v_cmp_class_f32_e32 vcc, v5, v4
	v_cndmask_b32_e32 v3, v3, v5, vcc
	v_div_scale_f32 v4, s[0:1], v3, v3, v2
	v_rcp_f32_e32 v5, v4
	v_fma_f32 v7, -v4, v5, 1.0
	v_fmac_f32_e32 v5, v7, v5
	v_div_scale_f32 v7, vcc, v2, v3, v2
	v_mul_f32_e32 v8, v7, v5
	v_fma_f32 v9, -v4, v8, v7
	v_fmac_f32_e32 v8, v9, v5
	v_fma_f32 v4, -v4, v8, v7
	v_div_fmas_f32 v4, v4, v5, v8
	v_div_fixup_f32 v7, v4, v3, v2
.LBB19_167:
	s_or_b64 exec, exec, s[12:13]
	v_fma_f32 v2, v1, v1, -2.0
	v_mov_b32_e32 v3, 0x293fd856
	v_fmac_f32_e32 v3, 0x251e770f, v2
	v_mov_b32_e32 v4, 0xa51e770f
	v_fmac_f32_e32 v4, v2, v3
	v_add_f32_e32 v4, 0x2d3612e2, v4
	v_fma_f32 v3, v2, v4, -v3
	v_add_f32_e32 v3, 0x3102e09b, v3
	v_fma_f32 v4, v2, v3, -v4
	;; [unrolled: 2-line block ×7, first 2 shown]
	v_cvt_f64_f32_e32 v[4:5], v1
	v_mul_f64 v[4:5], v[4:5], 0.5
	s_mov_b32 s0, 0x55555555
	v_frexp_mant_f64_e32 v[8:9], v[4:5]
	s_mov_b32 s1, 0x3fe55555
	v_mov_b32_e32 v10, 0x3ff00000
	v_cmp_gt_f64_e32 vcc, s[0:1], v[8:9]
	v_cndmask_b32_e64 v11, v10, 2.0, vcc
	v_mov_b32_e32 v10, 0
	v_mul_f64 v[8:9], v[8:9], v[10:11]
	v_add_f64 v[10:11], v[8:9], 1.0
	v_rcp_f64_e32 v[12:13], v[10:11]
	v_add_f64 v[16:17], v[10:11], -1.0
	v_add_f64 v[14:15], v[8:9], -1.0
	v_add_f64 v[8:9], v[8:9], -v[16:17]
	v_fma_f64 v[16:17], -v[10:11], v[12:13], 1.0
	v_fmac_f64_e32 v[12:13], v[16:17], v[12:13]
	v_fma_f64 v[16:17], -v[10:11], v[12:13], 1.0
	v_fmac_f64_e32 v[12:13], v[16:17], v[12:13]
	v_mul_f64 v[16:17], v[14:15], v[12:13]
	v_mul_f64 v[18:19], v[10:11], v[16:17]
	v_fma_f64 v[10:11], v[16:17], v[10:11], -v[18:19]
	v_fmac_f64_e32 v[10:11], v[16:17], v[8:9]
	v_add_f64 v[8:9], v[18:19], v[10:11]
	v_add_f64 v[20:21], v[14:15], -v[8:9]
	v_add_f64 v[18:19], v[8:9], -v[18:19]
	;; [unrolled: 1-line block ×5, first 2 shown]
	v_add_f64 v[8:9], v[10:11], v[8:9]
	v_add_f64 v[8:9], v[20:21], v[8:9]
	v_mul_f64 v[8:9], v[12:13], v[8:9]
	v_add_f64 v[10:11], v[16:17], v[8:9]
	v_add_f64 v[12:13], v[10:11], -v[16:17]
	s_mov_b32 s0, 0xbf559e2b
	v_add_f64 v[8:9], v[8:9], -v[12:13]
	v_mul_f64 v[12:13], v[10:11], v[10:11]
	v_mov_b32_e32 v14, 0x6b47b09a
	v_mov_b32_e32 v15, 0x3fc38538
	s_mov_b32 s1, 0x3fc3ab76
	v_fmac_f64_e32 v[14:15], s[0:1], v[12:13]
	v_mov_b32_e32 v16, 0xd7f4df2e
	v_mov_b32_e32 v17, 0x3fc7474d
	v_fmac_f64_e32 v[16:17], v[12:13], v[14:15]
	v_mov_b32_e32 v14, 0x16291751
	v_mov_b32_e32 v15, 0x3fcc71c0
	;; [unrolled: 3-line block ×5, first 2 shown]
	v_fmac_f64_e32 v[16:17], v[12:13], v[14:15]
	v_ldexp_f64 v[14:15], v[10:11], 1
	v_mul_f64 v[10:11], v[10:11], v[12:13]
	v_mul_f64 v[10:11], v[10:11], v[16:17]
	v_add_f64 v[12:13], v[14:15], v[10:11]
	v_add_f64 v[14:15], v[12:13], -v[14:15]
	v_ldexp_f64 v[8:9], v[8:9], 1
	v_add_f64 v[10:11], v[10:11], -v[14:15]
	v_add_f64 v[8:9], v[8:9], v[10:11]
	v_frexp_exp_i32_f64_e32 v1, v[4:5]
	v_add_f64 v[10:11], v[12:13], v[8:9]
	v_subbrev_co_u32_e32 v1, vcc, 0, v1, vcc
	v_add_f64 v[12:13], v[10:11], -v[12:13]
	s_mov_b32 s0, 0xfefa39ef
	v_add_f64 v[8:9], v[8:9], -v[12:13]
	v_cvt_f64_i32_e32 v[12:13], v1
	s_mov_b32 s1, 0x3fe62e42
	v_mul_f64 v[14:15], v[12:13], s[0:1]
	v_fma_f64 v[16:17], v[12:13], s[0:1], -v[14:15]
	s_mov_b32 s0, 0x3b39803f
	s_mov_b32 s1, 0x3c7abc9e
	v_fmac_f64_e32 v[16:17], s[0:1], v[12:13]
	v_add_f64 v[12:13], v[14:15], v[16:17]
	v_add_f64 v[14:15], v[12:13], -v[14:15]
	v_add_f64 v[14:15], v[16:17], -v[14:15]
	v_add_f64 v[16:17], v[12:13], v[10:11]
	v_add_f64 v[18:19], v[16:17], -v[12:13]
	v_add_f64 v[20:21], v[16:17], -v[18:19]
	;; [unrolled: 1-line block ×4, first 2 shown]
	v_add_f64 v[10:11], v[10:11], v[12:13]
	v_add_f64 v[12:13], v[14:15], v[8:9]
	v_add_f64 v[18:19], v[12:13], -v[14:15]
	v_add_f64 v[20:21], v[12:13], -v[18:19]
	v_add_f64 v[10:11], v[12:13], v[10:11]
	v_add_f64 v[14:15], v[14:15], -v[20:21]
	v_add_f64 v[8:9], v[8:9], -v[18:19]
	v_add_f64 v[12:13], v[16:17], v[10:11]
	v_add_f64 v[8:9], v[8:9], v[14:15]
	v_add_f64 v[14:15], v[12:13], -v[16:17]
	v_add_f64 v[10:11], v[10:11], -v[14:15]
	s_mov_b32 s0, 0
	v_add_f32_e32 v2, 0xbf090b37, v2
	v_add_f64 v[8:9], v[8:9], v[10:11]
	s_mov_b32 s1, 0x7ff00000
	v_sub_f32_e32 v2, v2, v3
	v_add_f64 v[8:9], v[12:13], v[8:9]
	v_cmp_eq_f64_e32 vcc, s[0:1], v[4:5]
	v_mul_f32_e32 v2, 0.5, v2
	v_cndmask_b32_e32 v1, v8, v4, vcc
	v_cndmask_b32_e32 v8, v9, v5, vcc
	v_mov_b32_e32 v9, 0xfff00000
	v_cmp_neq_f64_e32 vcc, 0, v[4:5]
	v_cvt_f64_f32_e32 v[2:3], v2
	v_cndmask_b32_e32 v5, v9, v8, vcc
	v_cndmask_b32_e32 v4, 0, v1, vcc
	v_cvt_f64_f32_e32 v[8:9], v7
	v_fma_f64 v[2:3], -v[4:5], v[8:9], v[2:3]
	v_cvt_f32_f64_e32 v2, v[2:3]
                                        ; implicit-def: $vgpr1
.LBB19_168:
	s_andn2_saveexec_b64 s[10:11], s[10:11]
	s_cbranch_execz .LBB19_170
; %bb.169:
	s_mov_b32 s12, 0x41000000
	v_div_scale_f32 v2, s[0:1], v1, v1, s12
	v_rcp_f32_e32 v3, v2
	v_div_scale_f32 v4, vcc, s12, v1, s12
	s_mov_b32 s0, 0xbfb8aa3b
	v_fma_f32 v5, -v2, v3, 1.0
	v_fmac_f32_e32 v3, v5, v3
	v_mul_f32_e32 v5, v4, v3
	v_fma_f32 v7, -v2, v5, v4
	v_fmac_f32_e32 v5, v7, v3
	v_fma_f32 v2, -v2, v5, v4
	v_div_fmas_f32 v2, v2, v3, v5
	v_div_fixup_f32 v2, v2, v1, s12
	v_add_f32_e32 v2, -2.0, v2
	v_mov_b32_e32 v3, 0xa397f665
	v_fmac_f32_e32 v3, 0x22c38d2e, v2
	v_mov_b32_e32 v4, 0xa2c38d2e
	v_fmac_f32_e32 v4, v2, v3
	v_add_f32_e32 v4, 0x24704972, v4
	v_fma_f32 v3, v2, v4, -v3
	v_add_f32_e32 v3, 0xa5417ca4, v3
	v_fma_f32 v4, v2, v3, -v4
	;; [unrolled: 2-line block ×17, first 2 shown]
	v_add_f32_e32 v3, 0xb5f5daa4, v3
	v_mul_f32_e32 v5, 0xbfb8aa3b, v1
	v_fma_f32 v4, v2, v3, -v4
	v_rndne_f32_e32 v7, v5
	v_add_f32_e32 v4, 0x376a09fe, v4
	v_sub_f32_e32 v8, v5, v7
	v_fma_f32 v5, v1, s0, -v5
	v_fma_f32 v3, v2, v4, -v3
	v_fmac_f32_e32 v5, 0xb2a5705f, v1
	v_add_f32_e32 v3, 0xb906bcbf, v3
	v_add_f32_e32 v5, v8, v5
	v_fma_f32 v4, v2, v3, -v4
	v_exp_f32_e32 v5, v5
	v_cvt_i32_f32_e32 v7, v7
	v_add_f32_e32 v4, 0x3acdc490, v4
	v_fma_f32 v3, v2, v4, -v3
	v_add_f32_e32 v3, 0xbd00cfb9, v3
	s_mov_b32 s0, 0x42ce8ed0
	v_fma_f32 v2, v2, v3, -v4
	v_ldexp_f32 v3, v5, v7
	v_cmp_nlt_f32_e32 vcc, s0, v1
	s_mov_b32 s0, 0xc2b17218
	v_cndmask_b32_e32 v3, 0, v3, vcc
	v_mov_b32_e32 v5, 0x7f800000
	v_cmp_ngt_f32_e32 vcc, s0, v1
	s_mov_b32 s0, 0xf800000
	v_cndmask_b32_e32 v3, v5, v3, vcc
	v_mul_f32_e32 v5, 0x4f800000, v1
	v_cmp_gt_f32_e32 vcc, s0, v1
	v_cndmask_b32_e32 v1, v1, v5, vcc
	v_sqrt_f32_e32 v5, v1
	v_add_f32_e32 v2, 0x401c2ded, v2
	v_sub_f32_e32 v2, v2, v4
	v_mul_f32_e32 v2, 0.5, v2
	v_mul_f32_e32 v2, v3, v2
	v_add_u32_e32 v3, -1, v5
	v_fma_f32 v4, -v3, v5, v1
	v_cmp_ge_f32_e64 s[0:1], 0, v4
	v_add_u32_e32 v4, 1, v5
	v_cndmask_b32_e64 v3, v5, v3, s[0:1]
	v_fma_f32 v5, -v4, v5, v1
	v_cmp_lt_f32_e64 s[0:1], 0, v5
	v_cndmask_b32_e64 v3, v3, v4, s[0:1]
	v_mul_f32_e32 v4, 0x37800000, v3
	v_cndmask_b32_e32 v3, v3, v4, vcc
	v_mov_b32_e32 v4, 0x260
	v_cmp_class_f32_e32 vcc, v1, v4
	v_cndmask_b32_e32 v1, v3, v1, vcc
	v_div_scale_f32 v3, s[0:1], v1, v1, v2
	v_rcp_f32_e32 v4, v3
	v_fma_f32 v5, -v3, v4, 1.0
	v_fmac_f32_e32 v4, v5, v4
	v_div_scale_f32 v5, vcc, v2, v1, v2
	v_mul_f32_e32 v7, v5, v4
	v_fma_f32 v8, -v3, v7, v5
	v_fmac_f32_e32 v7, v8, v4
	v_fma_f32 v3, -v3, v7, v5
	v_div_fmas_f32 v3, v3, v4, v7
	v_div_fixup_f32 v2, v3, v1, v2
.LBB19_170:
	s_or_b64 exec, exec, s[10:11]
.LBB19_171:
	s_or_b64 exec, exec, s[8:9]
.LBB19_172:
	s_or_b64 exec, exec, s[2:3]
	v_add_u32_e32 v6, 0x80, v6
	global_store_dword v0, v2, s[24:25]
	s_or_b64 exec, exec, s[48:49]
	v_cmp_gt_i32_e32 vcc, s57, v6
	s_and_saveexec_b64 s[48:49], vcc
	s_cbranch_execnz .LBB19_145
.LBB19_173:
	s_or_b64 exec, exec, s[48:49]
	v_cmp_gt_i32_e32 vcc, s57, v6
	s_and_saveexec_b64 s[48:49], vcc
	s_cbranch_execnz .LBB19_197
.LBB19_174:
	s_or_b64 exec, exec, s[48:49]
                                        ; implicit-def: $vgpr9
                                        ; implicit-def: $vgpr6
	s_andn2_saveexec_b64 s[0:1], s[34:35]
	s_cbranch_execnz .LBB19_9
.LBB19_175:
	s_endpgm
.LBB19_176:
	s_mov_b32 s51, s50
	v_pk_mov_b32 v[0:1], s[50:51], s[50:51] op_sel:[0,1]
                                        ; implicit-def: $vgpr2
	v_mov_b32_e32 v3, v6
.LBB19_177:
	s_and_b32 s8, s59, 3
	s_cmp_eq_u32 s8, 0
	s_cbranch_scc1 .LBB19_181
; %bb.178:
	s_lshl_b32 s0, s50, 3
	s_add_u32 s0, s0, s4
	s_addc_u32 s1, s5, 0
	s_add_u32 s0, s0, 0xc4
	s_addc_u32 s1, s1, 0
	s_mul_i32 s2, s50, 12
	s_add_u32 s2, s4, s2
	s_addc_u32 s3, s5, 0
.LBB19_179:                             ; =>This Inner Loop Header: Depth=1
	s_load_dwordx2 s[10:11], s[2:3], 0x4
	s_load_dword s9, s[2:3], 0xc
	s_load_dwordx2 s[12:13], s[0:1], 0x0
	v_mov_b32_e32 v2, v1
	s_add_u32 s2, s2, 12
	s_waitcnt lgkmcnt(0)
	v_mul_hi_u32 v1, s11, v3
	v_add_u32_e32 v1, v3, v1
	v_lshrrev_b32_e32 v1, s9, v1
	s_addc_u32 s3, s3, 0
	v_mul_lo_u32 v4, v1, s10
	s_add_u32 s0, s0, 8
	v_sub_u32_e32 v7, v3, v4
	v_mov_b32_e32 v3, v1
	s_addc_u32 s1, s1, 0
	s_add_i32 s8, s8, -1
	v_mad_u64_u32 v[4:5], s[10:11], v7, s13, v[2:3]
	v_mad_u64_u32 v[0:1], s[10:11], v7, s12, v[0:1]
	s_cmp_lg_u32 s8, 0
	v_mov_b32_e32 v1, v4
	s_cbranch_scc1 .LBB19_179
; %bb.180:
	v_mov_b32_e32 v2, v1
.LBB19_181:
	s_cbranch_execnz .LBB19_184
.LBB19_182:
	s_waitcnt lgkmcnt(0)
	v_mul_hi_u32 v0, s37, v6
	v_add_u32_e32 v0, v6, v0
	v_lshrrev_b32_e32 v1, s38, v0
	v_mul_lo_u32 v0, v1, s36
	v_sub_u32_e32 v0, v6, v0
	v_mul_lo_u32 v2, v0, s29
	s_andn2_b64 vcc, exec, s[42:43]
	v_mul_lo_u32 v0, v0, s28
	s_cbranch_vccnz .LBB19_184
; %bb.183:
	v_mul_hi_u32 v3, s40, v1
	v_add_u32_e32 v3, v1, v3
	v_lshrrev_b32_e32 v3, s41, v3
	v_mul_lo_u32 v3, v3, s39
	v_sub_u32_e32 v3, v1, v3
	v_mad_u64_u32 v[0:1], s[0:1], v3, s30, v[0:1]
	v_mad_u64_u32 v[2:3], s[0:1], v3, s31, v[2:3]
.LBB19_184:
	s_waitcnt lgkmcnt(0)
	global_load_dword v1, v2, s[26:27]
	v_mov_b32_e32 v2, 0x7f800000
	s_waitcnt vmcnt(0)
	v_cmp_neq_f32_e32 vcc, 0, v1
	s_and_saveexec_b64 s[2:3], vcc
	s_cbranch_execz .LBB19_196
; %bb.185:
	v_cmp_ngt_f32_e32 vcc, 0, v1
	v_mov_b32_e32 v2, 0x7fc00000
	s_and_saveexec_b64 s[8:9], vcc
	s_cbranch_execz .LBB19_195
; %bb.186:
	v_cmp_ge_f32_e32 vcc, 2.0, v1
                                        ; implicit-def: $vgpr2
	s_and_saveexec_b64 s[0:1], vcc
	s_xor_b64 s[10:11], exec, s[0:1]
	s_cbranch_execz .LBB19_192
; %bb.187:
	s_mov_b32 s0, 0x41000000
	v_cmp_ge_f32_e32 vcc, s0, v1
                                        ; implicit-def: $vgpr7
	s_and_saveexec_b64 s[0:1], vcc
	s_xor_b64 s[0:1], exec, s[0:1]
	s_cbranch_execz .LBB19_189
; %bb.188:
	v_fma_f32 v2, v1, 0.5, -2.0
	v_mov_b32_e32 v3, 0x24199b15
	v_fmac_f32_e32 v3, 0xa2a2e5b9, v2
	v_mov_b32_e32 v4, 0x22a2e5b9
	v_fmac_f32_e32 v4, v2, v3
	v_add_f32_e32 v4, 0xa58c275c, v4
	v_fma_f32 v3, v2, v4, -v3
	v_add_f32_e32 v3, 0x26f736c5, v3
	v_fma_f32 v4, v2, v3, -v4
	;; [unrolled: 2-line block ×23, first 2 shown]
	v_mul_f32_e32 v5, 0x3fb8aa3b, v1
	v_add_f32_e32 v3, 0x3d49f456, v3
	s_mov_b32 s12, 0x3fb8aa3b
	v_rndne_f32_e32 v7, v5
	v_fma_f32 v4, v2, v3, -v4
	v_sub_f32_e32 v8, v5, v7
	v_fma_f32 v5, v1, s12, -v5
	v_add_f32_e32 v4, 0xbdc25b82, v4
	v_fmac_f32_e32 v5, 0x32a5705f, v1
	v_fma_f32 v3, v2, v4, -v3
	v_add_f32_e32 v5, v8, v5
	v_add_f32_e32 v3, 0x3e2fbd64, v3
	v_exp_f32_e32 v5, v5
	v_cvt_i32_f32_e32 v7, v7
	v_fma_f32 v4, v2, v3, -v4
	v_add_f32_e32 v4, 0xbe9bff5e, v4
	v_fma_f32 v2, v2, v4, -v3
	s_mov_b32 s12, 0xc2ce8ed0
	v_add_f32_e32 v2, 0x3f2d4275, v2
	v_ldexp_f32 v4, v5, v7
	v_cmp_ngt_f32_e32 vcc, s12, v1
	s_mov_b32 s12, 0x42b17218
	v_cndmask_b32_e32 v4, 0, v4, vcc
	v_mov_b32_e32 v5, 0x7f800000
	v_cmp_nlt_f32_e32 vcc, s12, v1
	v_sub_f32_e32 v2, v2, v3
	v_cndmask_b32_e32 v4, v5, v4, vcc
	v_mul_f32_e32 v2, 0.5, v2
	v_mul_f32_e32 v7, v4, v2
.LBB19_189:
	s_andn2_saveexec_b64 s[12:13], s[0:1]
	s_cbranch_execz .LBB19_191
; %bb.190:
	s_mov_b32 s14, 0x42000000
	v_div_scale_f32 v2, s[0:1], v1, v1, s14
	v_rcp_f32_e32 v3, v2
	v_div_scale_f32 v4, vcc, s14, v1, s14
	s_mov_b32 s0, 0x3fb8aa3b
	v_fma_f32 v5, -v2, v3, 1.0
	v_fmac_f32_e32 v3, v5, v3
	v_mul_f32_e32 v5, v4, v3
	v_fma_f32 v7, -v2, v5, v4
	v_fmac_f32_e32 v5, v7, v3
	v_fma_f32 v2, -v2, v5, v4
	v_div_fmas_f32 v2, v2, v3, v5
	v_div_fixup_f32 v2, v2, v1, s14
	v_add_f32_e32 v2, -2.0, v2
	v_mov_b32_e32 v3, 0xa2b236d3
	v_fmac_f32_e32 v3, 0xa3056dbb, v2
	v_mov_b32_e32 v4, 0x23056dbb
	v_fmac_f32_e32 v4, v2, v3
	v_add_f32_e32 v4, 0x244df0c1, v4
	v_fma_f32 v3, v2, v4, -v3
	v_add_f32_e32 v3, 0x241f9ee8, v3
	v_fma_f32 v4, v2, v3, -v4
	;; [unrolled: 2-line block ×17, first 2 shown]
	v_add_f32_e32 v3, 0x32c2b494, v3
	v_mul_f32_e32 v5, 0x3fb8aa3b, v1
	v_fma_f32 v4, v2, v3, -v4
	v_rndne_f32_e32 v7, v5
	v_add_f32_e32 v4, 0x345c003f, v4
	v_sub_f32_e32 v8, v5, v7
	v_fma_f32 v5, v1, s0, -v5
	v_fma_f32 v3, v2, v4, -v3
	v_fmac_f32_e32 v5, 0x32a5705f, v1
	v_add_f32_e32 v3, 0x3642095e, v3
	v_add_f32_e32 v5, v8, v5
	v_fma_f32 v4, v2, v3, -v4
	v_exp_f32_e32 v5, v5
	v_cvt_i32_f32_e32 v7, v7
	v_add_f32_e32 v4, 0x38907d1c, v4
	v_fma_f32 v3, v2, v4, -v3
	v_add_f32_e32 v3, 0x3b5ccc65, v3
	s_mov_b32 s0, 0xc2ce8ed0
	v_fma_f32 v2, v2, v3, -v4
	v_ldexp_f32 v3, v5, v7
	v_cmp_ngt_f32_e32 vcc, s0, v1
	s_mov_b32 s0, 0x42b17218
	v_cndmask_b32_e32 v3, 0, v3, vcc
	v_mov_b32_e32 v5, 0x7f800000
	v_cmp_nlt_f32_e32 vcc, s0, v1
	s_mov_b32 s0, 0xf800000
	v_cndmask_b32_e32 v3, v5, v3, vcc
	v_mul_f32_e32 v5, 0x4f800000, v1
	v_cmp_gt_f32_e32 vcc, s0, v1
	v_cndmask_b32_e32 v5, v1, v5, vcc
	v_sqrt_f32_e32 v7, v5
	v_add_f32_e32 v2, 0x3f4df315, v2
	v_sub_f32_e32 v2, v2, v4
	v_mul_f32_e32 v2, 0.5, v2
	v_mul_f32_e32 v2, v3, v2
	v_add_u32_e32 v3, -1, v7
	v_fma_f32 v4, -v3, v7, v5
	v_cmp_ge_f32_e64 s[0:1], 0, v4
	v_add_u32_e32 v4, 1, v7
	v_cndmask_b32_e64 v3, v7, v3, s[0:1]
	v_fma_f32 v7, -v4, v7, v5
	v_cmp_lt_f32_e64 s[0:1], 0, v7
	v_cndmask_b32_e64 v3, v3, v4, s[0:1]
	v_mul_f32_e32 v4, 0x37800000, v3
	v_cndmask_b32_e32 v3, v3, v4, vcc
	v_mov_b32_e32 v4, 0x260
	v_cmp_class_f32_e32 vcc, v5, v4
	v_cndmask_b32_e32 v3, v3, v5, vcc
	v_div_scale_f32 v4, s[0:1], v3, v3, v2
	v_rcp_f32_e32 v5, v4
	v_fma_f32 v7, -v4, v5, 1.0
	v_fmac_f32_e32 v5, v7, v5
	v_div_scale_f32 v7, vcc, v2, v3, v2
	v_mul_f32_e32 v8, v7, v5
	v_fma_f32 v9, -v4, v8, v7
	v_fmac_f32_e32 v8, v9, v5
	v_fma_f32 v4, -v4, v8, v7
	v_div_fmas_f32 v4, v4, v5, v8
	v_div_fixup_f32 v7, v4, v3, v2
.LBB19_191:
	s_or_b64 exec, exec, s[12:13]
	v_fma_f32 v2, v1, v1, -2.0
	v_mov_b32_e32 v3, 0x293fd856
	v_fmac_f32_e32 v3, 0x251e770f, v2
	v_mov_b32_e32 v4, 0xa51e770f
	v_fmac_f32_e32 v4, v2, v3
	v_add_f32_e32 v4, 0x2d3612e2, v4
	v_fma_f32 v3, v2, v4, -v3
	v_add_f32_e32 v3, 0x3102e09b, v3
	v_fma_f32 v4, v2, v3, -v4
	;; [unrolled: 2-line block ×7, first 2 shown]
	v_cvt_f64_f32_e32 v[4:5], v1
	v_mul_f64 v[4:5], v[4:5], 0.5
	s_mov_b32 s0, 0x55555555
	v_frexp_mant_f64_e32 v[8:9], v[4:5]
	s_mov_b32 s1, 0x3fe55555
	v_mov_b32_e32 v10, 0x3ff00000
	v_cmp_gt_f64_e32 vcc, s[0:1], v[8:9]
	v_cndmask_b32_e64 v11, v10, 2.0, vcc
	v_mov_b32_e32 v10, 0
	v_mul_f64 v[8:9], v[8:9], v[10:11]
	v_add_f64 v[10:11], v[8:9], 1.0
	v_rcp_f64_e32 v[12:13], v[10:11]
	v_add_f64 v[16:17], v[10:11], -1.0
	v_add_f64 v[14:15], v[8:9], -1.0
	v_add_f64 v[8:9], v[8:9], -v[16:17]
	v_fma_f64 v[16:17], -v[10:11], v[12:13], 1.0
	v_fmac_f64_e32 v[12:13], v[16:17], v[12:13]
	v_fma_f64 v[16:17], -v[10:11], v[12:13], 1.0
	v_fmac_f64_e32 v[12:13], v[16:17], v[12:13]
	v_mul_f64 v[16:17], v[14:15], v[12:13]
	v_mul_f64 v[18:19], v[10:11], v[16:17]
	v_fma_f64 v[10:11], v[16:17], v[10:11], -v[18:19]
	v_fmac_f64_e32 v[10:11], v[16:17], v[8:9]
	v_add_f64 v[8:9], v[18:19], v[10:11]
	v_add_f64 v[20:21], v[14:15], -v[8:9]
	v_add_f64 v[18:19], v[8:9], -v[18:19]
	v_add_f64 v[14:15], v[14:15], -v[20:21]
	v_add_f64 v[8:9], v[14:15], -v[8:9]
	v_add_f64 v[10:11], v[18:19], -v[10:11]
	v_add_f64 v[8:9], v[10:11], v[8:9]
	v_add_f64 v[8:9], v[20:21], v[8:9]
	v_mul_f64 v[8:9], v[12:13], v[8:9]
	v_add_f64 v[10:11], v[16:17], v[8:9]
	v_add_f64 v[12:13], v[10:11], -v[16:17]
	s_mov_b32 s0, 0xbf559e2b
	v_add_f64 v[8:9], v[8:9], -v[12:13]
	v_mul_f64 v[12:13], v[10:11], v[10:11]
	v_mov_b32_e32 v14, 0x6b47b09a
	v_mov_b32_e32 v15, 0x3fc38538
	s_mov_b32 s1, 0x3fc3ab76
	v_fmac_f64_e32 v[14:15], s[0:1], v[12:13]
	v_mov_b32_e32 v16, 0xd7f4df2e
	v_mov_b32_e32 v17, 0x3fc7474d
	v_fmac_f64_e32 v[16:17], v[12:13], v[14:15]
	v_mov_b32_e32 v14, 0x16291751
	v_mov_b32_e32 v15, 0x3fcc71c0
	;; [unrolled: 3-line block ×5, first 2 shown]
	v_fmac_f64_e32 v[16:17], v[12:13], v[14:15]
	v_ldexp_f64 v[14:15], v[10:11], 1
	v_mul_f64 v[10:11], v[10:11], v[12:13]
	v_mul_f64 v[10:11], v[10:11], v[16:17]
	v_add_f64 v[12:13], v[14:15], v[10:11]
	v_add_f64 v[14:15], v[12:13], -v[14:15]
	v_ldexp_f64 v[8:9], v[8:9], 1
	v_add_f64 v[10:11], v[10:11], -v[14:15]
	v_add_f64 v[8:9], v[8:9], v[10:11]
	v_frexp_exp_i32_f64_e32 v1, v[4:5]
	v_add_f64 v[10:11], v[12:13], v[8:9]
	v_subbrev_co_u32_e32 v1, vcc, 0, v1, vcc
	v_add_f64 v[12:13], v[10:11], -v[12:13]
	s_mov_b32 s0, 0xfefa39ef
	v_add_f64 v[8:9], v[8:9], -v[12:13]
	v_cvt_f64_i32_e32 v[12:13], v1
	s_mov_b32 s1, 0x3fe62e42
	v_mul_f64 v[14:15], v[12:13], s[0:1]
	v_fma_f64 v[16:17], v[12:13], s[0:1], -v[14:15]
	s_mov_b32 s0, 0x3b39803f
	s_mov_b32 s1, 0x3c7abc9e
	v_fmac_f64_e32 v[16:17], s[0:1], v[12:13]
	v_add_f64 v[12:13], v[14:15], v[16:17]
	v_add_f64 v[14:15], v[12:13], -v[14:15]
	v_add_f64 v[14:15], v[16:17], -v[14:15]
	v_add_f64 v[16:17], v[12:13], v[10:11]
	v_add_f64 v[18:19], v[16:17], -v[12:13]
	v_add_f64 v[20:21], v[16:17], -v[18:19]
	;; [unrolled: 1-line block ×4, first 2 shown]
	v_add_f64 v[10:11], v[10:11], v[12:13]
	v_add_f64 v[12:13], v[14:15], v[8:9]
	v_add_f64 v[18:19], v[12:13], -v[14:15]
	v_add_f64 v[20:21], v[12:13], -v[18:19]
	v_add_f64 v[10:11], v[12:13], v[10:11]
	v_add_f64 v[14:15], v[14:15], -v[20:21]
	v_add_f64 v[8:9], v[8:9], -v[18:19]
	v_add_f64 v[12:13], v[16:17], v[10:11]
	v_add_f64 v[8:9], v[8:9], v[14:15]
	v_add_f64 v[14:15], v[12:13], -v[16:17]
	v_add_f64 v[10:11], v[10:11], -v[14:15]
	s_mov_b32 s0, 0
	v_add_f32_e32 v2, 0xbf090b37, v2
	v_add_f64 v[8:9], v[8:9], v[10:11]
	s_mov_b32 s1, 0x7ff00000
	v_sub_f32_e32 v2, v2, v3
	v_add_f64 v[8:9], v[12:13], v[8:9]
	v_cmp_eq_f64_e32 vcc, s[0:1], v[4:5]
	v_mul_f32_e32 v2, 0.5, v2
	v_cndmask_b32_e32 v1, v8, v4, vcc
	v_cndmask_b32_e32 v8, v9, v5, vcc
	v_mov_b32_e32 v9, 0xfff00000
	v_cmp_neq_f64_e32 vcc, 0, v[4:5]
	v_cvt_f64_f32_e32 v[2:3], v2
	v_cndmask_b32_e32 v5, v9, v8, vcc
	v_cndmask_b32_e32 v4, 0, v1, vcc
	v_cvt_f64_f32_e32 v[8:9], v7
	v_fma_f64 v[2:3], -v[4:5], v[8:9], v[2:3]
	v_cvt_f32_f64_e32 v2, v[2:3]
                                        ; implicit-def: $vgpr1
.LBB19_192:
	s_andn2_saveexec_b64 s[10:11], s[10:11]
	s_cbranch_execz .LBB19_194
; %bb.193:
	s_mov_b32 s12, 0x41000000
	v_div_scale_f32 v2, s[0:1], v1, v1, s12
	v_rcp_f32_e32 v3, v2
	v_div_scale_f32 v4, vcc, s12, v1, s12
	s_mov_b32 s0, 0xbfb8aa3b
	v_fma_f32 v5, -v2, v3, 1.0
	v_fmac_f32_e32 v3, v5, v3
	v_mul_f32_e32 v5, v4, v3
	v_fma_f32 v7, -v2, v5, v4
	v_fmac_f32_e32 v5, v7, v3
	v_fma_f32 v2, -v2, v5, v4
	v_div_fmas_f32 v2, v2, v3, v5
	v_div_fixup_f32 v2, v2, v1, s12
	v_add_f32_e32 v2, -2.0, v2
	v_mov_b32_e32 v3, 0xa397f665
	v_fmac_f32_e32 v3, 0x22c38d2e, v2
	v_mov_b32_e32 v4, 0xa2c38d2e
	v_fmac_f32_e32 v4, v2, v3
	v_add_f32_e32 v4, 0x24704972, v4
	v_fma_f32 v3, v2, v4, -v3
	v_add_f32_e32 v3, 0xa5417ca4, v3
	v_fma_f32 v4, v2, v3, -v4
	;; [unrolled: 2-line block ×17, first 2 shown]
	v_add_f32_e32 v3, 0xb5f5daa4, v3
	v_mul_f32_e32 v5, 0xbfb8aa3b, v1
	v_fma_f32 v4, v2, v3, -v4
	v_rndne_f32_e32 v7, v5
	v_add_f32_e32 v4, 0x376a09fe, v4
	v_sub_f32_e32 v8, v5, v7
	v_fma_f32 v5, v1, s0, -v5
	v_fma_f32 v3, v2, v4, -v3
	v_fmac_f32_e32 v5, 0xb2a5705f, v1
	v_add_f32_e32 v3, 0xb906bcbf, v3
	v_add_f32_e32 v5, v8, v5
	v_fma_f32 v4, v2, v3, -v4
	v_exp_f32_e32 v5, v5
	v_cvt_i32_f32_e32 v7, v7
	v_add_f32_e32 v4, 0x3acdc490, v4
	v_fma_f32 v3, v2, v4, -v3
	v_add_f32_e32 v3, 0xbd00cfb9, v3
	s_mov_b32 s0, 0x42ce8ed0
	v_fma_f32 v2, v2, v3, -v4
	v_ldexp_f32 v3, v5, v7
	v_cmp_nlt_f32_e32 vcc, s0, v1
	s_mov_b32 s0, 0xc2b17218
	v_cndmask_b32_e32 v3, 0, v3, vcc
	v_mov_b32_e32 v5, 0x7f800000
	v_cmp_ngt_f32_e32 vcc, s0, v1
	s_mov_b32 s0, 0xf800000
	v_cndmask_b32_e32 v3, v5, v3, vcc
	v_mul_f32_e32 v5, 0x4f800000, v1
	v_cmp_gt_f32_e32 vcc, s0, v1
	v_cndmask_b32_e32 v1, v1, v5, vcc
	v_sqrt_f32_e32 v5, v1
	v_add_f32_e32 v2, 0x401c2ded, v2
	v_sub_f32_e32 v2, v2, v4
	v_mul_f32_e32 v2, 0.5, v2
	v_mul_f32_e32 v2, v3, v2
	v_add_u32_e32 v3, -1, v5
	v_fma_f32 v4, -v3, v5, v1
	v_cmp_ge_f32_e64 s[0:1], 0, v4
	v_add_u32_e32 v4, 1, v5
	v_cndmask_b32_e64 v3, v5, v3, s[0:1]
	v_fma_f32 v5, -v4, v5, v1
	v_cmp_lt_f32_e64 s[0:1], 0, v5
	v_cndmask_b32_e64 v3, v3, v4, s[0:1]
	v_mul_f32_e32 v4, 0x37800000, v3
	v_cndmask_b32_e32 v3, v3, v4, vcc
	v_mov_b32_e32 v4, 0x260
	v_cmp_class_f32_e32 vcc, v1, v4
	v_cndmask_b32_e32 v1, v3, v1, vcc
	v_div_scale_f32 v3, s[0:1], v1, v1, v2
	v_rcp_f32_e32 v4, v3
	v_fma_f32 v5, -v3, v4, 1.0
	v_fmac_f32_e32 v4, v5, v4
	v_div_scale_f32 v5, vcc, v2, v1, v2
	v_mul_f32_e32 v7, v5, v4
	v_fma_f32 v8, -v3, v7, v5
	v_fmac_f32_e32 v7, v8, v4
	v_fma_f32 v3, -v3, v7, v5
	v_div_fmas_f32 v3, v3, v4, v7
	v_div_fixup_f32 v2, v3, v1, v2
.LBB19_194:
	s_or_b64 exec, exec, s[10:11]
.LBB19_195:
	s_or_b64 exec, exec, s[8:9]
.LBB19_196:
	s_or_b64 exec, exec, s[2:3]
	v_add_u32_e32 v6, 0x80, v6
	global_store_dword v0, v2, s[24:25]
	s_or_b64 exec, exec, s[48:49]
	v_cmp_gt_i32_e32 vcc, s57, v6
	s_and_saveexec_b64 s[48:49], vcc
	s_cbranch_execz .LBB19_174
.LBB19_197:
	s_andn2_b64 vcc, exec, s[6:7]
	s_cbranch_vccnz .LBB19_203
; %bb.198:
	s_mov_b32 s50, 0
	s_andn2_b64 vcc, exec, s[46:47]
	v_mov_b32_e32 v2, 0
	v_mov_b32_e32 v0, 0
	s_cbranch_vccnz .LBB19_209
; %bb.199:
	s_add_i32 s58, s58, 1
	s_cmp_eq_u32 s56, 2
	s_cbranch_scc1 .LBB19_204
; %bb.200:
	s_and_b32 s50, s58, 28
	s_mov_b32 s51, 0
	v_mov_b32_e32 v0, 0
	s_mov_b64 s[46:47], s[4:5]
	v_mov_b32_e32 v3, v6
	v_mov_b32_e32 v2, 0
.LBB19_201:                             ; =>This Inner Loop Header: Depth=1
	s_load_dwordx8 s[16:23], s[46:47], 0x4
	s_load_dwordx4 s[0:3], s[46:47], 0x24
	s_load_dwordx8 s[8:15], s[44:45], 0x0
	s_add_u32 s46, s46, 48
	s_addc_u32 s47, s47, 0
	s_waitcnt lgkmcnt(0)
	v_mul_hi_u32 v1, s17, v3
	v_add_u32_e32 v1, v3, v1
	v_lshrrev_b32_e32 v1, s18, v1
	v_mul_lo_u32 v4, v1, s16
	v_mul_hi_u32 v5, s20, v1
	v_sub_u32_e32 v3, v3, v4
	v_add_u32_e32 v4, v1, v5
	v_lshrrev_b32_e32 v4, s21, v4
	v_mul_lo_u32 v7, v4, s19
	v_mul_hi_u32 v8, s23, v4
	v_sub_u32_e32 v1, v1, v7
	v_add_u32_e32 v7, v4, v8
	v_mul_lo_u32 v5, v3, s9
	v_mul_lo_u32 v3, v3, s8
	;; [unrolled: 1-line block ×4, first 2 shown]
	v_lshrrev_b32_e32 v7, s0, v7
	v_add3_u32 v0, v3, v0, v1
	v_mul_hi_u32 v3, s2, v7
	v_add_u32_e32 v3, v7, v3
	v_lshrrev_b32_e32 v3, s3, v3
	s_add_i32 s51, s51, 4
	v_add3_u32 v1, v5, v2, v8
	v_mul_lo_u32 v2, v7, s22
	v_mul_lo_u32 v5, v3, s1
	s_add_u32 s44, s44, 32
	v_sub_u32_e32 v2, v4, v2
	v_sub_u32_e32 v5, v7, v5
	s_addc_u32 s45, s45, 0
	v_mul_lo_u32 v4, v2, s12
	v_mul_lo_u32 v2, v2, s13
	;; [unrolled: 1-line block ×4, first 2 shown]
	s_cmp_eq_u32 s50, s51
	v_add3_u32 v2, v2, v1, v5
	v_add3_u32 v0, v4, v0, v7
	s_cbranch_scc0 .LBB19_201
; %bb.202:
	v_mov_b32_e32 v1, v2
	s_branch .LBB19_205
.LBB19_203:
                                        ; implicit-def: $vgpr2
                                        ; implicit-def: $vgpr0
	s_branch .LBB19_210
.LBB19_204:
	s_mov_b32 s51, s50
	v_pk_mov_b32 v[0:1], s[50:51], s[50:51] op_sel:[0,1]
                                        ; implicit-def: $vgpr2
	v_mov_b32_e32 v3, v6
.LBB19_205:
	s_and_b32 s8, s58, 3
	s_cmp_eq_u32 s8, 0
	s_cbranch_scc1 .LBB19_209
; %bb.206:
	s_lshl_b32 s0, s50, 3
	s_add_u32 s0, s0, s4
	s_addc_u32 s1, s5, 0
	s_add_u32 s0, s0, 0xc4
	s_addc_u32 s1, s1, 0
	s_mul_i32 s2, s50, 12
	s_add_u32 s2, s4, s2
	s_addc_u32 s3, s5, 0
.LBB19_207:                             ; =>This Inner Loop Header: Depth=1
	s_load_dwordx2 s[10:11], s[2:3], 0x4
	s_load_dword s9, s[2:3], 0xc
	s_load_dwordx2 s[12:13], s[0:1], 0x0
	v_mov_b32_e32 v2, v1
	s_add_u32 s2, s2, 12
	s_waitcnt lgkmcnt(0)
	v_mul_hi_u32 v1, s11, v3
	v_add_u32_e32 v1, v3, v1
	v_lshrrev_b32_e32 v1, s9, v1
	s_addc_u32 s3, s3, 0
	v_mul_lo_u32 v4, v1, s10
	s_add_u32 s0, s0, 8
	v_sub_u32_e32 v7, v3, v4
	v_mov_b32_e32 v3, v1
	s_addc_u32 s1, s1, 0
	s_add_i32 s8, s8, -1
	v_mad_u64_u32 v[4:5], s[10:11], v7, s13, v[2:3]
	v_mad_u64_u32 v[0:1], s[10:11], v7, s12, v[0:1]
	s_cmp_lg_u32 s8, 0
	v_mov_b32_e32 v1, v4
	s_cbranch_scc1 .LBB19_207
; %bb.208:
	v_mov_b32_e32 v2, v1
.LBB19_209:
	s_cbranch_execnz .LBB19_212
.LBB19_210:
	s_waitcnt lgkmcnt(0)
	v_mul_hi_u32 v0, s37, v6
	v_add_u32_e32 v0, v6, v0
	v_lshrrev_b32_e32 v1, s38, v0
	v_mul_lo_u32 v0, v1, s36
	v_sub_u32_e32 v0, v6, v0
	v_mul_lo_u32 v2, v0, s29
	s_andn2_b64 vcc, exec, s[42:43]
	v_mul_lo_u32 v0, v0, s28
	s_cbranch_vccnz .LBB19_212
; %bb.211:
	v_mul_hi_u32 v3, s40, v1
	v_add_u32_e32 v3, v1, v3
	v_lshrrev_b32_e32 v3, s41, v3
	v_mul_lo_u32 v3, v3, s39
	v_sub_u32_e32 v3, v1, v3
	v_mad_u64_u32 v[0:1], s[0:1], v3, s30, v[0:1]
	v_mad_u64_u32 v[2:3], s[0:1], v3, s31, v[2:3]
.LBB19_212:
	s_waitcnt lgkmcnt(0)
	global_load_dword v1, v2, s[26:27]
	v_mov_b32_e32 v2, 0x7f800000
	s_waitcnt vmcnt(0)
	v_cmp_neq_f32_e32 vcc, 0, v1
	s_and_saveexec_b64 s[2:3], vcc
	s_cbranch_execz .LBB19_224
; %bb.213:
	v_cmp_ngt_f32_e32 vcc, 0, v1
	v_mov_b32_e32 v2, 0x7fc00000
	s_and_saveexec_b64 s[8:9], vcc
	s_cbranch_execz .LBB19_223
; %bb.214:
	v_cmp_ge_f32_e32 vcc, 2.0, v1
                                        ; implicit-def: $vgpr2
	s_and_saveexec_b64 s[0:1], vcc
	s_xor_b64 s[10:11], exec, s[0:1]
	s_cbranch_execz .LBB19_220
; %bb.215:
	s_mov_b32 s0, 0x41000000
	v_cmp_ge_f32_e32 vcc, s0, v1
                                        ; implicit-def: $vgpr6
	s_and_saveexec_b64 s[0:1], vcc
	s_xor_b64 s[0:1], exec, s[0:1]
	s_cbranch_execz .LBB19_217
; %bb.216:
	v_fma_f32 v2, v1, 0.5, -2.0
	v_mov_b32_e32 v3, 0x24199b15
	v_fmac_f32_e32 v3, 0xa2a2e5b9, v2
	v_mov_b32_e32 v4, 0x22a2e5b9
	v_fmac_f32_e32 v4, v2, v3
	v_add_f32_e32 v4, 0xa58c275c, v4
	v_fma_f32 v3, v2, v4, -v3
	v_add_f32_e32 v3, 0x26f736c5, v3
	v_fma_f32 v4, v2, v3, -v4
	;; [unrolled: 2-line block ×23, first 2 shown]
	v_mul_f32_e32 v5, 0x3fb8aa3b, v1
	v_add_f32_e32 v3, 0x3d49f456, v3
	s_mov_b32 s12, 0x3fb8aa3b
	v_rndne_f32_e32 v6, v5
	v_fma_f32 v4, v2, v3, -v4
	v_sub_f32_e32 v7, v5, v6
	v_fma_f32 v5, v1, s12, -v5
	v_add_f32_e32 v4, 0xbdc25b82, v4
	v_fmac_f32_e32 v5, 0x32a5705f, v1
	v_fma_f32 v3, v2, v4, -v3
	v_add_f32_e32 v5, v7, v5
	v_add_f32_e32 v3, 0x3e2fbd64, v3
	v_exp_f32_e32 v5, v5
	v_cvt_i32_f32_e32 v6, v6
	v_fma_f32 v4, v2, v3, -v4
	v_add_f32_e32 v4, 0xbe9bff5e, v4
	v_fma_f32 v2, v2, v4, -v3
	s_mov_b32 s12, 0xc2ce8ed0
	v_add_f32_e32 v2, 0x3f2d4275, v2
	v_ldexp_f32 v4, v5, v6
	v_cmp_ngt_f32_e32 vcc, s12, v1
	s_mov_b32 s12, 0x42b17218
	v_cndmask_b32_e32 v4, 0, v4, vcc
	v_mov_b32_e32 v5, 0x7f800000
	v_cmp_nlt_f32_e32 vcc, s12, v1
	v_sub_f32_e32 v2, v2, v3
	v_cndmask_b32_e32 v4, v5, v4, vcc
	v_mul_f32_e32 v2, 0.5, v2
	v_mul_f32_e32 v6, v4, v2
.LBB19_217:
	s_andn2_saveexec_b64 s[12:13], s[0:1]
	s_cbranch_execz .LBB19_219
; %bb.218:
	s_mov_b32 s14, 0x42000000
	v_div_scale_f32 v2, s[0:1], v1, v1, s14
	v_rcp_f32_e32 v3, v2
	v_div_scale_f32 v4, vcc, s14, v1, s14
	s_mov_b32 s0, 0x3fb8aa3b
	v_fma_f32 v5, -v2, v3, 1.0
	v_fmac_f32_e32 v3, v5, v3
	v_mul_f32_e32 v5, v4, v3
	v_fma_f32 v6, -v2, v5, v4
	v_fmac_f32_e32 v5, v6, v3
	v_fma_f32 v2, -v2, v5, v4
	v_div_fmas_f32 v2, v2, v3, v5
	v_div_fixup_f32 v2, v2, v1, s14
	v_add_f32_e32 v2, -2.0, v2
	v_mov_b32_e32 v3, 0xa2b236d3
	v_fmac_f32_e32 v3, 0xa3056dbb, v2
	v_mov_b32_e32 v4, 0x23056dbb
	v_fmac_f32_e32 v4, v2, v3
	v_add_f32_e32 v4, 0x244df0c1, v4
	v_fma_f32 v3, v2, v4, -v3
	v_add_f32_e32 v3, 0x241f9ee8, v3
	v_fma_f32 v4, v2, v3, -v4
	v_add_f32_e32 v4, 0xa5a3005d, v4
	v_fma_f32 v3, v2, v4, -v3
	v_add_f32_e32 v3, 0xa5c5773f, v3
	v_fma_f32 v4, v2, v3, -v4
	v_add_f32_e32 v4, 0x26ff73ed, v4
	v_fma_f32 v3, v2, v4, -v3
	v_add_f32_e32 v3, 0x2789548d, v3
	v_fma_f32 v4, v2, v3, -v4
	v_add_f32_e32 v4, 0xa82c1ff4, v4
	v_fma_f32 v3, v2, v4, -v3
	v_add_f32_e32 v3, 0xa93aecce, v3
	v_fma_f32 v4, v2, v3, -v4
	v_add_f32_e32 v4, 0x288ab7f8, v4
	v_fma_f32 v3, v2, v4, -v3
	v_add_f32_e32 v3, 0x2ad8e463, v3
	v_fma_f32 v4, v2, v3, -v4
	v_add_f32_e32 v4, 0x2b4a1a40, v4
	v_fma_f32 v3, v2, v4, -v3
	v_add_f32_e32 v3, 0xabfc8218, v3
	v_fma_f32 v4, v2, v3, -v4
	v_add_f32_e32 v4, 0xad687eba, v4
	v_fma_f32 v3, v2, v4, -v3
	v_add_f32_e32 v3, 0xae0a88e8, v3
	v_fma_f32 v4, v2, v3, -v4
	v_add_f32_e32 v4, 0x2d5127f5, v4
	v_fma_f32 v3, v2, v4, -v3
	v_add_f32_e32 v3, 0x3007ce66, v3
	v_fma_f32 v4, v2, v3, -v4
	v_add_f32_e32 v4, 0x31696325, v4
	v_fma_f32 v3, v2, v4, -v3
	v_add_f32_e32 v3, 0x32c2b494, v3
	v_mul_f32_e32 v5, 0x3fb8aa3b, v1
	v_fma_f32 v4, v2, v3, -v4
	v_rndne_f32_e32 v6, v5
	v_add_f32_e32 v4, 0x345c003f, v4
	v_sub_f32_e32 v7, v5, v6
	v_fma_f32 v5, v1, s0, -v5
	v_fma_f32 v3, v2, v4, -v3
	v_fmac_f32_e32 v5, 0x32a5705f, v1
	v_add_f32_e32 v3, 0x3642095e, v3
	v_add_f32_e32 v5, v7, v5
	v_fma_f32 v4, v2, v3, -v4
	v_exp_f32_e32 v5, v5
	v_cvt_i32_f32_e32 v6, v6
	v_add_f32_e32 v4, 0x38907d1c, v4
	v_fma_f32 v3, v2, v4, -v3
	v_add_f32_e32 v3, 0x3b5ccc65, v3
	s_mov_b32 s0, 0xc2ce8ed0
	v_fma_f32 v2, v2, v3, -v4
	v_ldexp_f32 v3, v5, v6
	v_cmp_ngt_f32_e32 vcc, s0, v1
	s_mov_b32 s0, 0x42b17218
	v_cndmask_b32_e32 v3, 0, v3, vcc
	v_mov_b32_e32 v5, 0x7f800000
	v_cmp_nlt_f32_e32 vcc, s0, v1
	s_mov_b32 s0, 0xf800000
	v_cndmask_b32_e32 v3, v5, v3, vcc
	v_mul_f32_e32 v5, 0x4f800000, v1
	v_cmp_gt_f32_e32 vcc, s0, v1
	v_cndmask_b32_e32 v5, v1, v5, vcc
	v_sqrt_f32_e32 v6, v5
	v_add_f32_e32 v2, 0x3f4df315, v2
	v_sub_f32_e32 v2, v2, v4
	v_mul_f32_e32 v2, 0.5, v2
	v_mul_f32_e32 v2, v3, v2
	v_add_u32_e32 v3, -1, v6
	v_fma_f32 v4, -v3, v6, v5
	v_cmp_ge_f32_e64 s[0:1], 0, v4
	v_add_u32_e32 v4, 1, v6
	v_cndmask_b32_e64 v3, v6, v3, s[0:1]
	v_fma_f32 v6, -v4, v6, v5
	v_cmp_lt_f32_e64 s[0:1], 0, v6
	v_cndmask_b32_e64 v3, v3, v4, s[0:1]
	v_mul_f32_e32 v4, 0x37800000, v3
	v_cndmask_b32_e32 v3, v3, v4, vcc
	v_mov_b32_e32 v4, 0x260
	v_cmp_class_f32_e32 vcc, v5, v4
	v_cndmask_b32_e32 v3, v3, v5, vcc
	v_div_scale_f32 v4, s[0:1], v3, v3, v2
	v_rcp_f32_e32 v5, v4
	v_fma_f32 v6, -v4, v5, 1.0
	v_fmac_f32_e32 v5, v6, v5
	v_div_scale_f32 v6, vcc, v2, v3, v2
	v_mul_f32_e32 v7, v6, v5
	v_fma_f32 v8, -v4, v7, v6
	v_fmac_f32_e32 v7, v8, v5
	v_fma_f32 v4, -v4, v7, v6
	v_div_fmas_f32 v4, v4, v5, v7
	v_div_fixup_f32 v6, v4, v3, v2
.LBB19_219:
	s_or_b64 exec, exec, s[12:13]
	v_fma_f32 v2, v1, v1, -2.0
	v_mov_b32_e32 v3, 0x293fd856
	v_fmac_f32_e32 v3, 0x251e770f, v2
	v_mov_b32_e32 v4, 0xa51e770f
	v_fmac_f32_e32 v4, v2, v3
	v_add_f32_e32 v4, 0x2d3612e2, v4
	v_fma_f32 v3, v2, v4, -v3
	v_add_f32_e32 v3, 0x3102e09b, v3
	v_fma_f32 v4, v2, v3, -v4
	;; [unrolled: 2-line block ×7, first 2 shown]
	v_cvt_f64_f32_e32 v[4:5], v1
	v_mul_f64 v[4:5], v[4:5], 0.5
	s_mov_b32 s0, 0x55555555
	v_frexp_mant_f64_e32 v[8:9], v[4:5]
	s_mov_b32 s1, 0x3fe55555
	v_mov_b32_e32 v7, 0x3ff00000
	v_cmp_gt_f64_e32 vcc, s[0:1], v[8:9]
	v_cndmask_b32_e64 v11, v7, 2.0, vcc
	v_mov_b32_e32 v10, 0
	v_mul_f64 v[8:9], v[8:9], v[10:11]
	v_add_f64 v[10:11], v[8:9], 1.0
	v_rcp_f64_e32 v[12:13], v[10:11]
	v_add_f64 v[16:17], v[10:11], -1.0
	v_add_f64 v[14:15], v[8:9], -1.0
	v_add_f64 v[8:9], v[8:9], -v[16:17]
	v_fma_f64 v[16:17], -v[10:11], v[12:13], 1.0
	v_fmac_f64_e32 v[12:13], v[16:17], v[12:13]
	v_fma_f64 v[16:17], -v[10:11], v[12:13], 1.0
	v_fmac_f64_e32 v[12:13], v[16:17], v[12:13]
	v_mul_f64 v[16:17], v[14:15], v[12:13]
	v_mul_f64 v[18:19], v[10:11], v[16:17]
	v_fma_f64 v[10:11], v[16:17], v[10:11], -v[18:19]
	v_fmac_f64_e32 v[10:11], v[16:17], v[8:9]
	v_add_f64 v[8:9], v[18:19], v[10:11]
	v_add_f64 v[20:21], v[14:15], -v[8:9]
	v_add_f64 v[18:19], v[8:9], -v[18:19]
	;; [unrolled: 1-line block ×5, first 2 shown]
	v_add_f64 v[8:9], v[10:11], v[8:9]
	v_add_f64 v[8:9], v[20:21], v[8:9]
	v_mul_f64 v[8:9], v[12:13], v[8:9]
	v_add_f64 v[10:11], v[16:17], v[8:9]
	v_add_f64 v[12:13], v[10:11], -v[16:17]
	s_mov_b32 s0, 0xbf559e2b
	v_add_f64 v[8:9], v[8:9], -v[12:13]
	v_mul_f64 v[12:13], v[10:11], v[10:11]
	v_mov_b32_e32 v14, 0x6b47b09a
	v_mov_b32_e32 v15, 0x3fc38538
	s_mov_b32 s1, 0x3fc3ab76
	v_fmac_f64_e32 v[14:15], s[0:1], v[12:13]
	v_mov_b32_e32 v16, 0xd7f4df2e
	v_mov_b32_e32 v17, 0x3fc7474d
	v_fmac_f64_e32 v[16:17], v[12:13], v[14:15]
	v_mov_b32_e32 v14, 0x16291751
	v_mov_b32_e32 v15, 0x3fcc71c0
	v_fmac_f64_e32 v[14:15], v[12:13], v[16:17]
	v_mov_b32_e32 v16, 0x9b27acf1
	v_mov_b32_e32 v17, 0x3fd24924
	v_fmac_f64_e32 v[16:17], v[12:13], v[14:15]
	v_mov_b32_e32 v14, 0x998ef7b6
	v_mov_b32_e32 v15, 0x3fd99999
	v_fmac_f64_e32 v[14:15], v[12:13], v[16:17]
	v_mov_b32_e32 v16, 0x55555780
	v_mov_b32_e32 v17, 0x3fe55555
	v_fmac_f64_e32 v[16:17], v[12:13], v[14:15]
	v_ldexp_f64 v[14:15], v[10:11], 1
	v_mul_f64 v[10:11], v[10:11], v[12:13]
	v_mul_f64 v[10:11], v[10:11], v[16:17]
	v_add_f64 v[12:13], v[14:15], v[10:11]
	v_add_f64 v[14:15], v[12:13], -v[14:15]
	v_ldexp_f64 v[8:9], v[8:9], 1
	v_add_f64 v[10:11], v[10:11], -v[14:15]
	v_add_f64 v[8:9], v[8:9], v[10:11]
	v_frexp_exp_i32_f64_e32 v1, v[4:5]
	v_add_f64 v[10:11], v[12:13], v[8:9]
	v_subbrev_co_u32_e32 v1, vcc, 0, v1, vcc
	v_add_f64 v[12:13], v[10:11], -v[12:13]
	s_mov_b32 s0, 0xfefa39ef
	v_add_f64 v[8:9], v[8:9], -v[12:13]
	v_cvt_f64_i32_e32 v[12:13], v1
	s_mov_b32 s1, 0x3fe62e42
	v_mul_f64 v[14:15], v[12:13], s[0:1]
	v_fma_f64 v[16:17], v[12:13], s[0:1], -v[14:15]
	s_mov_b32 s0, 0x3b39803f
	s_mov_b32 s1, 0x3c7abc9e
	v_fmac_f64_e32 v[16:17], s[0:1], v[12:13]
	v_add_f64 v[12:13], v[14:15], v[16:17]
	v_add_f64 v[14:15], v[12:13], -v[14:15]
	v_add_f64 v[14:15], v[16:17], -v[14:15]
	v_add_f64 v[16:17], v[12:13], v[10:11]
	v_add_f64 v[18:19], v[16:17], -v[12:13]
	v_add_f64 v[20:21], v[16:17], -v[18:19]
	;; [unrolled: 1-line block ×4, first 2 shown]
	v_add_f64 v[10:11], v[10:11], v[12:13]
	v_add_f64 v[12:13], v[14:15], v[8:9]
	v_add_f64 v[18:19], v[12:13], -v[14:15]
	v_add_f64 v[20:21], v[12:13], -v[18:19]
	v_add_f64 v[10:11], v[12:13], v[10:11]
	v_add_f64 v[14:15], v[14:15], -v[20:21]
	v_add_f64 v[8:9], v[8:9], -v[18:19]
	v_add_f64 v[12:13], v[16:17], v[10:11]
	v_add_f64 v[8:9], v[8:9], v[14:15]
	v_add_f64 v[14:15], v[12:13], -v[16:17]
	v_add_f64 v[10:11], v[10:11], -v[14:15]
	s_mov_b32 s0, 0
	v_add_f32_e32 v2, 0xbf090b37, v2
	v_add_f64 v[8:9], v[8:9], v[10:11]
	s_mov_b32 s1, 0x7ff00000
	v_sub_f32_e32 v2, v2, v3
	v_add_f64 v[8:9], v[12:13], v[8:9]
	v_cmp_eq_f64_e32 vcc, s[0:1], v[4:5]
	v_mul_f32_e32 v2, 0.5, v2
	v_cndmask_b32_e32 v1, v8, v4, vcc
	v_cndmask_b32_e32 v7, v9, v5, vcc
	v_mov_b32_e32 v8, 0xfff00000
	v_cmp_neq_f64_e32 vcc, 0, v[4:5]
	v_cvt_f64_f32_e32 v[2:3], v2
	v_cndmask_b32_e32 v5, v8, v7, vcc
	v_cndmask_b32_e32 v4, 0, v1, vcc
	v_cvt_f64_f32_e32 v[6:7], v6
	v_fma_f64 v[2:3], -v[4:5], v[6:7], v[2:3]
	v_cvt_f32_f64_e32 v2, v[2:3]
                                        ; implicit-def: $vgpr1
.LBB19_220:
	s_andn2_saveexec_b64 s[10:11], s[10:11]
	s_cbranch_execz .LBB19_222
; %bb.221:
	s_mov_b32 s12, 0x41000000
	v_div_scale_f32 v2, s[0:1], v1, v1, s12
	v_rcp_f32_e32 v3, v2
	v_div_scale_f32 v4, vcc, s12, v1, s12
	s_mov_b32 s0, 0xbfb8aa3b
	v_fma_f32 v5, -v2, v3, 1.0
	v_fmac_f32_e32 v3, v5, v3
	v_mul_f32_e32 v5, v4, v3
	v_fma_f32 v6, -v2, v5, v4
	v_fmac_f32_e32 v5, v6, v3
	v_fma_f32 v2, -v2, v5, v4
	v_div_fmas_f32 v2, v2, v3, v5
	v_div_fixup_f32 v2, v2, v1, s12
	v_add_f32_e32 v2, -2.0, v2
	v_mov_b32_e32 v3, 0xa397f665
	v_fmac_f32_e32 v3, 0x22c38d2e, v2
	v_mov_b32_e32 v4, 0xa2c38d2e
	v_fmac_f32_e32 v4, v2, v3
	v_add_f32_e32 v4, 0x24704972, v4
	v_fma_f32 v3, v2, v4, -v3
	v_add_f32_e32 v3, 0xa5417ca4, v3
	v_fma_f32 v4, v2, v3, -v4
	;; [unrolled: 2-line block ×17, first 2 shown]
	v_add_f32_e32 v3, 0xb5f5daa4, v3
	v_mul_f32_e32 v5, 0xbfb8aa3b, v1
	v_fma_f32 v4, v2, v3, -v4
	v_rndne_f32_e32 v6, v5
	v_add_f32_e32 v4, 0x376a09fe, v4
	v_sub_f32_e32 v7, v5, v6
	v_fma_f32 v5, v1, s0, -v5
	v_fma_f32 v3, v2, v4, -v3
	v_fmac_f32_e32 v5, 0xb2a5705f, v1
	v_add_f32_e32 v3, 0xb906bcbf, v3
	v_add_f32_e32 v5, v7, v5
	v_fma_f32 v4, v2, v3, -v4
	v_exp_f32_e32 v5, v5
	v_cvt_i32_f32_e32 v6, v6
	v_add_f32_e32 v4, 0x3acdc490, v4
	v_fma_f32 v3, v2, v4, -v3
	v_add_f32_e32 v3, 0xbd00cfb9, v3
	s_mov_b32 s0, 0x42ce8ed0
	v_fma_f32 v2, v2, v3, -v4
	v_ldexp_f32 v3, v5, v6
	v_cmp_nlt_f32_e32 vcc, s0, v1
	s_mov_b32 s0, 0xc2b17218
	v_cndmask_b32_e32 v3, 0, v3, vcc
	v_mov_b32_e32 v5, 0x7f800000
	v_cmp_ngt_f32_e32 vcc, s0, v1
	s_mov_b32 s0, 0xf800000
	v_cndmask_b32_e32 v3, v5, v3, vcc
	v_mul_f32_e32 v5, 0x4f800000, v1
	v_cmp_gt_f32_e32 vcc, s0, v1
	v_cndmask_b32_e32 v1, v1, v5, vcc
	v_sqrt_f32_e32 v5, v1
	v_add_f32_e32 v2, 0x401c2ded, v2
	v_sub_f32_e32 v2, v2, v4
	v_mul_f32_e32 v2, 0.5, v2
	v_mul_f32_e32 v2, v3, v2
	v_add_u32_e32 v3, -1, v5
	v_fma_f32 v4, -v3, v5, v1
	v_cmp_ge_f32_e64 s[0:1], 0, v4
	v_add_u32_e32 v4, 1, v5
	v_cndmask_b32_e64 v3, v5, v3, s[0:1]
	v_fma_f32 v5, -v4, v5, v1
	v_cmp_lt_f32_e64 s[0:1], 0, v5
	v_cndmask_b32_e64 v3, v3, v4, s[0:1]
	v_mul_f32_e32 v4, 0x37800000, v3
	v_cndmask_b32_e32 v3, v3, v4, vcc
	v_mov_b32_e32 v4, 0x260
	v_cmp_class_f32_e32 vcc, v1, v4
	v_cndmask_b32_e32 v1, v3, v1, vcc
	v_div_scale_f32 v3, s[0:1], v1, v1, v2
	v_rcp_f32_e32 v4, v3
	v_fma_f32 v5, -v3, v4, 1.0
	v_fmac_f32_e32 v4, v5, v4
	v_div_scale_f32 v5, vcc, v2, v1, v2
	v_mul_f32_e32 v6, v5, v4
	v_fma_f32 v7, -v3, v6, v5
	v_fmac_f32_e32 v6, v7, v4
	v_fma_f32 v3, -v3, v6, v5
	v_div_fmas_f32 v3, v3, v4, v6
	v_div_fixup_f32 v2, v3, v1, v2
.LBB19_222:
	s_or_b64 exec, exec, s[10:11]
.LBB19_223:
	s_or_b64 exec, exec, s[8:9]
.LBB19_224:
	s_or_b64 exec, exec, s[2:3]
	global_store_dword v0, v2, s[24:25]
	s_or_b64 exec, exec, s[48:49]
                                        ; implicit-def: $vgpr9
                                        ; implicit-def: $vgpr6
	s_andn2_saveexec_b64 s[0:1], s[34:35]
	s_cbranch_execz .LBB19_175
	s_branch .LBB19_9
	.section	.rodata,"a",@progbits
	.p2align	6, 0x0
	.amdhsa_kernel _ZN2at6native32elementwise_kernel_manual_unrollILi128ELi4EZNS0_22gpu_kernel_impl_nocastIZZZNS0_12_GLOBAL__N_130modified_bessel_k0_kernel_cudaERNS_18TensorIteratorBaseEENKUlvE_clEvENKUlvE0_clEvEUlfE_EEvS5_RKT_EUlibE_EEviT1_
		.amdhsa_group_segment_fixed_size 0
		.amdhsa_private_segment_fixed_size 0
		.amdhsa_kernarg_size 360
		.amdhsa_user_sgpr_count 6
		.amdhsa_user_sgpr_private_segment_buffer 1
		.amdhsa_user_sgpr_dispatch_ptr 0
		.amdhsa_user_sgpr_queue_ptr 0
		.amdhsa_user_sgpr_kernarg_segment_ptr 1
		.amdhsa_user_sgpr_dispatch_id 0
		.amdhsa_user_sgpr_flat_scratch_init 0
		.amdhsa_user_sgpr_kernarg_preload_length 0
		.amdhsa_user_sgpr_kernarg_preload_offset 0
		.amdhsa_user_sgpr_private_segment_size 0
		.amdhsa_uses_dynamic_stack 0
		.amdhsa_system_sgpr_private_segment_wavefront_offset 0
		.amdhsa_system_sgpr_workgroup_id_x 1
		.amdhsa_system_sgpr_workgroup_id_y 0
		.amdhsa_system_sgpr_workgroup_id_z 0
		.amdhsa_system_sgpr_workgroup_info 0
		.amdhsa_system_vgpr_workitem_id 0
		.amdhsa_next_free_vgpr 32
		.amdhsa_next_free_sgpr 60
		.amdhsa_accum_offset 32
		.amdhsa_reserve_vcc 1
		.amdhsa_reserve_flat_scratch 0
		.amdhsa_float_round_mode_32 0
		.amdhsa_float_round_mode_16_64 0
		.amdhsa_float_denorm_mode_32 3
		.amdhsa_float_denorm_mode_16_64 3
		.amdhsa_dx10_clamp 1
		.amdhsa_ieee_mode 1
		.amdhsa_fp16_overflow 0
		.amdhsa_tg_split 0
		.amdhsa_exception_fp_ieee_invalid_op 0
		.amdhsa_exception_fp_denorm_src 0
		.amdhsa_exception_fp_ieee_div_zero 0
		.amdhsa_exception_fp_ieee_overflow 0
		.amdhsa_exception_fp_ieee_underflow 0
		.amdhsa_exception_fp_ieee_inexact 0
		.amdhsa_exception_int_div_zero 0
	.end_amdhsa_kernel
	.section	.text._ZN2at6native32elementwise_kernel_manual_unrollILi128ELi4EZNS0_22gpu_kernel_impl_nocastIZZZNS0_12_GLOBAL__N_130modified_bessel_k0_kernel_cudaERNS_18TensorIteratorBaseEENKUlvE_clEvENKUlvE0_clEvEUlfE_EEvS5_RKT_EUlibE_EEviT1_,"axG",@progbits,_ZN2at6native32elementwise_kernel_manual_unrollILi128ELi4EZNS0_22gpu_kernel_impl_nocastIZZZNS0_12_GLOBAL__N_130modified_bessel_k0_kernel_cudaERNS_18TensorIteratorBaseEENKUlvE_clEvENKUlvE0_clEvEUlfE_EEvS5_RKT_EUlibE_EEviT1_,comdat
.Lfunc_end19:
	.size	_ZN2at6native32elementwise_kernel_manual_unrollILi128ELi4EZNS0_22gpu_kernel_impl_nocastIZZZNS0_12_GLOBAL__N_130modified_bessel_k0_kernel_cudaERNS_18TensorIteratorBaseEENKUlvE_clEvENKUlvE0_clEvEUlfE_EEvS5_RKT_EUlibE_EEviT1_, .Lfunc_end19-_ZN2at6native32elementwise_kernel_manual_unrollILi128ELi4EZNS0_22gpu_kernel_impl_nocastIZZZNS0_12_GLOBAL__N_130modified_bessel_k0_kernel_cudaERNS_18TensorIteratorBaseEENKUlvE_clEvENKUlvE0_clEvEUlfE_EEvS5_RKT_EUlibE_EEviT1_
                                        ; -- End function
	.section	.AMDGPU.csdata,"",@progbits
; Kernel info:
; codeLenInByte = 31228
; NumSgprs: 64
; NumVgprs: 32
; NumAgprs: 0
; TotalNumVgprs: 32
; ScratchSize: 0
; MemoryBound: 0
; FloatMode: 240
; IeeeMode: 1
; LDSByteSize: 0 bytes/workgroup (compile time only)
; SGPRBlocks: 7
; VGPRBlocks: 3
; NumSGPRsForWavesPerEU: 64
; NumVGPRsForWavesPerEU: 32
; AccumOffset: 32
; Occupancy: 8
; WaveLimiterHint : 1
; COMPUTE_PGM_RSRC2:SCRATCH_EN: 0
; COMPUTE_PGM_RSRC2:USER_SGPR: 6
; COMPUTE_PGM_RSRC2:TRAP_HANDLER: 0
; COMPUTE_PGM_RSRC2:TGID_X_EN: 1
; COMPUTE_PGM_RSRC2:TGID_Y_EN: 0
; COMPUTE_PGM_RSRC2:TGID_Z_EN: 0
; COMPUTE_PGM_RSRC2:TIDIG_COMP_CNT: 0
; COMPUTE_PGM_RSRC3_GFX90A:ACCUM_OFFSET: 7
; COMPUTE_PGM_RSRC3_GFX90A:TG_SPLIT: 0
	.text
	.p2align	2                               ; -- Begin function _ZN2at6native6invokeIZZZNS0_12_GLOBAL__N_130modified_bessel_k0_kernel_cudaERNS_18TensorIteratorBaseEENKUlvE_clEvENKUlvE0_clEvEUlfE_i15function_traitsIS7_EEENT1_11result_typeERKT_PrKPcPKT0_PKN3c1010ScalarTypeEi
	.type	_ZN2at6native6invokeIZZZNS0_12_GLOBAL__N_130modified_bessel_k0_kernel_cudaERNS_18TensorIteratorBaseEENKUlvE_clEvENKUlvE0_clEvEUlfE_i15function_traitsIS7_EEENT1_11result_typeERKT_PrKPcPKT0_PKN3c1010ScalarTypeEi,@function
_ZN2at6native6invokeIZZZNS0_12_GLOBAL__N_130modified_bessel_k0_kernel_cudaERNS_18TensorIteratorBaseEENKUlvE_clEvENKUlvE0_clEvEUlfE_i15function_traitsIS7_EEENT1_11result_typeERKT_PrKPcPKT0_PKN3c1010ScalarTypeEi: ; @_ZN2at6native6invokeIZZZNS0_12_GLOBAL__N_130modified_bessel_k0_kernel_cudaERNS_18TensorIteratorBaseEENKUlvE_clEvENKUlvE0_clEvEUlfE_i15function_traitsIS7_EEENT1_11result_typeERKT_PrKPcPKT0_PKN3c1010ScalarTypeEi
; %bb.0:
	s_waitcnt vmcnt(0) expcnt(0) lgkmcnt(0)
	v_mul_lo_u32 v2, v4, v2
	v_ashrrev_i32_e32 v4, 31, v2
	v_add_co_u32_e32 v0, vcc, v0, v2
	v_mov_b32_e32 v2, 10
	v_addc_co_u32_e32 v1, vcc, v1, v4, vcc
	v_cmp_gt_i16_sdwa s[4:5], v3, v2 src0_sel:BYTE_0 src1_sel:DWORD
	s_mov_b64 s[8:9], 0
                                        ; implicit-def: $vgpr2
	s_and_saveexec_b64 s[6:7], s[4:5]
	s_xor_b64 s[4:5], exec, s[6:7]
	s_cbranch_execnz .LBB20_4
; %bb.1:
	s_andn2_saveexec_b64 s[4:5], s[4:5]
	s_cbranch_execnz .LBB20_10
.LBB20_2:
	s_or_b64 exec, exec, s[4:5]
                                        ; implicit-def: $vgpr0
	s_and_saveexec_b64 s[6:7], s[8:9]
	s_cbranch_execnz .LBB20_51
.LBB20_3:
	s_or_b64 exec, exec, s[6:7]
	s_waitcnt vmcnt(0) lgkmcnt(0)
	s_setpc_b64 s[30:31]
.LBB20_4:
	v_mov_b32_e32 v2, 25
	v_cmp_gt_i16_sdwa s[10:11], v3, v2 src0_sel:BYTE_0 src1_sel:DWORD
	s_mov_b64 s[6:7], 0
	s_mov_b64 s[12:13], 0
                                        ; implicit-def: $vgpr2
	s_and_saveexec_b64 s[14:15], s[10:11]
	s_xor_b64 s[10:11], exec, s[14:15]
	s_cbranch_execnz .LBB20_64
; %bb.5:
	s_andn2_saveexec_b64 s[10:11], s[10:11]
	s_cbranch_execnz .LBB20_95
.LBB20_6:
	s_or_b64 exec, exec, s[10:11]
	s_and_saveexec_b64 s[10:11], s[12:13]
	s_cbranch_execnz .LBB20_118
.LBB20_7:
	s_or_b64 exec, exec, s[10:11]
	s_and_saveexec_b64 s[10:11], s[6:7]
	s_xor_b64 s[6:7], exec, s[10:11]
	s_cbranch_execz .LBB20_9
.LBB20_8:
	flat_load_ubyte v0, v[0:1]
	s_or_b64 s[8:9], s[8:9], exec
	s_waitcnt vmcnt(0) lgkmcnt(0)
	v_cmp_ne_u16_e32 vcc, 0, v0
	v_cndmask_b32_e64 v2, 0, 1.0, vcc
.LBB20_9:
	s_or_b64 exec, exec, s[6:7]
	s_and_b64 s[8:9], s[8:9], exec
                                        ; implicit-def: $vgpr3
                                        ; implicit-def: $vgpr0_vgpr1
	s_andn2_saveexec_b64 s[4:5], s[4:5]
	s_cbranch_execz .LBB20_2
.LBB20_10:
	v_mov_b32_e32 v2, 4
	v_cmp_gt_i16_sdwa s[6:7], v3, v2 src0_sel:BYTE_0 src1_sel:DWORD
                                        ; implicit-def: $vgpr2
	s_and_saveexec_b64 s[10:11], s[6:7]
	s_xor_b64 s[6:7], exec, s[10:11]
	s_cbranch_execz .LBB20_32
; %bb.11:
	v_mov_b32_e32 v2, 7
	v_cmp_gt_i16_sdwa s[10:11], v3, v2 src0_sel:BYTE_0 src1_sel:DWORD
                                        ; implicit-def: $vgpr2
	s_and_saveexec_b64 s[12:13], s[10:11]
	s_xor_b64 s[10:11], exec, s[12:13]
	s_cbranch_execz .LBB20_21
; %bb.12:
	;; [unrolled: 7-line block ×4, first 2 shown]
	flat_load_dwordx2 v[0:1], v[0:1]
	s_waitcnt vmcnt(0) lgkmcnt(0)
	v_cvt_f32_f64_e32 v2, v[0:1]
                                        ; implicit-def: $vgpr0_vgpr1
.LBB20_15:
	s_andn2_saveexec_b64 s[14:15], s[14:15]
	s_cbranch_execz .LBB20_17
; %bb.16:
	flat_load_dword v2, v[0:1]
.LBB20_17:
	s_or_b64 exec, exec, s[14:15]
                                        ; implicit-def: $vgpr0_vgpr1
.LBB20_18:
	s_andn2_saveexec_b64 s[12:13], s[12:13]
	s_cbranch_execz .LBB20_20
; %bb.19:
	flat_load_dword v0, v[0:1]
	s_waitcnt vmcnt(0) lgkmcnt(0)
	v_cvt_f32_f16_e32 v2, v0
.LBB20_20:
	s_or_b64 exec, exec, s[12:13]
                                        ; implicit-def: $vgpr0_vgpr1
                                        ; implicit-def: $vgpr3
.LBB20_21:
	s_andn2_saveexec_b64 s[10:11], s[10:11]
	s_cbranch_execz .LBB20_31
; %bb.22:
	s_waitcnt vmcnt(0) lgkmcnt(0)
	v_mov_b32_e32 v2, 5
	v_cmp_gt_i16_sdwa s[12:13], v3, v2 src0_sel:BYTE_0 src1_sel:DWORD
                                        ; implicit-def: $vgpr2
	s_and_saveexec_b64 s[14:15], s[12:13]
	s_xor_b64 s[12:13], exec, s[14:15]
	s_cbranch_execz .LBB20_28
; %bb.23:
	v_mov_b32_e32 v2, 6
	v_cmp_gt_i16_sdwa s[14:15], v3, v2 src0_sel:BYTE_0 src1_sel:DWORD
                                        ; implicit-def: $vgpr2
	s_and_saveexec_b64 s[16:17], s[14:15]
	s_xor_b64 s[14:15], exec, s[16:17]
	s_cbranch_execz .LBB20_25
; %bb.24:
	flat_load_dwordx2 v[0:1], v[0:1]
	s_waitcnt vmcnt(0) lgkmcnt(0)
	v_cvt_f32_f64_e32 v2, v[0:1]
                                        ; implicit-def: $vgpr0_vgpr1
.LBB20_25:
	s_andn2_saveexec_b64 s[14:15], s[14:15]
	s_cbranch_execz .LBB20_27
; %bb.26:
	flat_load_dword v2, v[0:1]
.LBB20_27:
	s_or_b64 exec, exec, s[14:15]
                                        ; implicit-def: $vgpr0_vgpr1
.LBB20_28:
	s_andn2_saveexec_b64 s[12:13], s[12:13]
	s_cbranch_execz .LBB20_30
; %bb.29:
	flat_load_ushort v0, v[0:1]
	s_waitcnt vmcnt(0) lgkmcnt(0)
	v_cvt_f32_f16_e32 v2, v0
.LBB20_30:
	s_or_b64 exec, exec, s[12:13]
.LBB20_31:
	s_or_b64 exec, exec, s[10:11]
                                        ; implicit-def: $vgpr3
                                        ; implicit-def: $vgpr0_vgpr1
.LBB20_32:
	s_andn2_saveexec_b64 s[6:7], s[6:7]
	s_cbranch_execz .LBB20_50
; %bb.33:
	s_waitcnt vmcnt(0) lgkmcnt(0)
	v_mov_b32_e32 v2, 1
	v_cmp_gt_i16_sdwa s[10:11], v3, v2 src0_sel:BYTE_0 src1_sel:DWORD
                                        ; implicit-def: $vgpr2
	s_and_saveexec_b64 s[12:13], s[10:11]
	s_xor_b64 s[10:11], exec, s[12:13]
	s_cbranch_execz .LBB20_43
; %bb.34:
	v_mov_b32_e32 v2, 2
	v_cmp_gt_i16_sdwa s[12:13], v3, v2 src0_sel:BYTE_0 src1_sel:DWORD
                                        ; implicit-def: $vgpr2
	s_and_saveexec_b64 s[14:15], s[12:13]
	s_xor_b64 s[12:13], exec, s[14:15]
	s_cbranch_execz .LBB20_40
; %bb.35:
	;; [unrolled: 7-line block ×3, first 2 shown]
	flat_load_dwordx2 v[0:1], v[0:1]
	s_waitcnt vmcnt(0) lgkmcnt(0)
	v_xor_b32_e32 v3, v0, v1
	v_ffbh_i32_e32 v2, v1
	v_ashrrev_i32_e32 v3, 31, v3
	v_add_u32_e32 v2, -1, v2
	v_add_u32_e32 v3, 32, v3
	v_min_u32_e32 v2, v2, v3
	v_lshlrev_b64 v[0:1], v2, v[0:1]
	v_min_u32_e32 v0, 1, v0
	v_or_b32_e32 v0, v1, v0
	v_cvt_f32_i32_e32 v0, v0
	v_sub_u32_e32 v1, 32, v2
	v_ldexp_f32 v2, v0, v1
                                        ; implicit-def: $vgpr0_vgpr1
.LBB20_37:
	s_andn2_saveexec_b64 s[14:15], s[14:15]
	s_cbranch_execz .LBB20_39
; %bb.38:
	flat_load_dword v0, v[0:1]
	s_waitcnt vmcnt(0) lgkmcnt(0)
	v_cvt_f32_i32_e32 v2, v0
.LBB20_39:
	s_or_b64 exec, exec, s[14:15]
                                        ; implicit-def: $vgpr0_vgpr1
.LBB20_40:
	s_andn2_saveexec_b64 s[12:13], s[12:13]
	s_cbranch_execz .LBB20_42
; %bb.41:
	flat_load_sshort v0, v[0:1]
	s_waitcnt vmcnt(0) lgkmcnt(0)
	v_cvt_f32_i32_e32 v2, v0
.LBB20_42:
	s_or_b64 exec, exec, s[12:13]
                                        ; implicit-def: $vgpr0_vgpr1
                                        ; implicit-def: $vgpr3
.LBB20_43:
	s_andn2_saveexec_b64 s[10:11], s[10:11]
	s_cbranch_execz .LBB20_49
; %bb.44:
	v_mov_b32_e32 v2, 0
	v_cmp_gt_i16_sdwa s[12:13], v3, v2 src0_sel:BYTE_0 src1_sel:DWORD
                                        ; implicit-def: $vgpr2
	s_and_saveexec_b64 s[14:15], s[12:13]
	s_xor_b64 s[12:13], exec, s[14:15]
	s_cbranch_execz .LBB20_46
; %bb.45:
	flat_load_sbyte v0, v[0:1]
	s_waitcnt vmcnt(0) lgkmcnt(0)
	v_cvt_f32_i32_e32 v2, v0
                                        ; implicit-def: $vgpr0_vgpr1
.LBB20_46:
	s_andn2_saveexec_b64 s[12:13], s[12:13]
	s_cbranch_execz .LBB20_48
; %bb.47:
	flat_load_ubyte v0, v[0:1]
	s_waitcnt vmcnt(0) lgkmcnt(0)
	v_cvt_f32_ubyte0_e32 v2, v0
.LBB20_48:
	s_or_b64 exec, exec, s[12:13]
.LBB20_49:
	s_or_b64 exec, exec, s[10:11]
.LBB20_50:
	s_or_b64 exec, exec, s[6:7]
	s_or_b64 s[8:9], s[8:9], exec
	s_or_b64 exec, exec, s[4:5]
                                        ; implicit-def: $vgpr0
	s_and_saveexec_b64 s[6:7], s[8:9]
	s_cbranch_execz .LBB20_3
.LBB20_51:
	s_waitcnt vmcnt(0) lgkmcnt(0)
	v_cmp_neq_f32_e32 vcc, 0, v2
	v_mov_b32_e32 v0, 0x7f800000
	s_and_saveexec_b64 s[8:9], vcc
	s_cbranch_execz .LBB20_63
; %bb.52:
	v_cmp_ngt_f32_e32 vcc, 0, v2
	v_mov_b32_e32 v0, 0x7fc00000
	s_and_saveexec_b64 s[10:11], vcc
	s_cbranch_execz .LBB20_62
; %bb.53:
	v_cmp_ge_f32_e32 vcc, 2.0, v2
                                        ; implicit-def: $vgpr0
	s_and_saveexec_b64 s[4:5], vcc
	s_xor_b64 s[12:13], exec, s[4:5]
	s_cbranch_execz .LBB20_59
; %bb.54:
	s_mov_b32 s4, 0x41000000
	v_cmp_ge_f32_e32 vcc, s4, v2
                                        ; implicit-def: $vgpr4
	s_and_saveexec_b64 s[4:5], vcc
	s_xor_b64 s[4:5], exec, s[4:5]
	s_cbranch_execz .LBB20_56
; %bb.55:
	v_fma_f32 v0, v2, 0.5, -2.0
	v_mov_b32_e32 v1, 0x24199b15
	v_fmac_f32_e32 v1, 0xa2a2e5b9, v0
	v_mov_b32_e32 v3, 0x22a2e5b9
	v_fmac_f32_e32 v3, v0, v1
	v_add_f32_e32 v3, 0xa58c275c, v3
	v_fma_f32 v1, v0, v3, -v1
	v_add_f32_e32 v1, 0x26f736c5, v1
	v_fma_f32 v3, v0, v1, -v3
	;; [unrolled: 2-line block ×23, first 2 shown]
	v_mul_f32_e32 v4, 0x3fb8aa3b, v2
	v_add_f32_e32 v1, 0x3d49f456, v1
	s_mov_b32 s14, 0x3fb8aa3b
	v_rndne_f32_e32 v5, v4
	v_fma_f32 v3, v0, v1, -v3
	v_sub_f32_e32 v6, v4, v5
	v_fma_f32 v4, v2, s14, -v4
	v_add_f32_e32 v3, 0xbdc25b82, v3
	v_fmac_f32_e32 v4, 0x32a5705f, v2
	v_fma_f32 v1, v0, v3, -v1
	v_add_f32_e32 v4, v6, v4
	v_add_f32_e32 v1, 0x3e2fbd64, v1
	v_exp_f32_e32 v4, v4
	v_cvt_i32_f32_e32 v5, v5
	v_fma_f32 v3, v0, v1, -v3
	v_add_f32_e32 v3, 0xbe9bff5e, v3
	v_fma_f32 v0, v0, v3, -v1
	s_mov_b32 s14, 0xc2ce8ed0
	v_add_f32_e32 v0, 0x3f2d4275, v0
	v_ldexp_f32 v3, v4, v5
	v_cmp_ngt_f32_e32 vcc, s14, v2
	s_mov_b32 s14, 0x42b17218
	v_cndmask_b32_e32 v3, 0, v3, vcc
	v_mov_b32_e32 v4, 0x7f800000
	v_cmp_nlt_f32_e32 vcc, s14, v2
	v_sub_f32_e32 v0, v0, v1
	v_cndmask_b32_e32 v3, v4, v3, vcc
	v_mul_f32_e32 v0, 0.5, v0
	v_mul_f32_e32 v4, v3, v0
.LBB20_56:
	s_andn2_saveexec_b64 s[14:15], s[4:5]
	s_cbranch_execz .LBB20_58
; %bb.57:
	s_mov_b32 s16, 0x42000000
	v_div_scale_f32 v0, s[4:5], v2, v2, s16
	v_rcp_f32_e32 v1, v0
	v_div_scale_f32 v3, vcc, s16, v2, s16
	s_mov_b32 s4, 0x3fb8aa3b
	v_fma_f32 v4, -v0, v1, 1.0
	v_fmac_f32_e32 v1, v4, v1
	v_mul_f32_e32 v4, v3, v1
	v_fma_f32 v5, -v0, v4, v3
	v_fmac_f32_e32 v4, v5, v1
	v_fma_f32 v0, -v0, v4, v3
	v_div_fmas_f32 v0, v0, v1, v4
	v_div_fixup_f32 v0, v0, v2, s16
	v_add_f32_e32 v0, -2.0, v0
	v_mov_b32_e32 v1, 0xa2b236d3
	v_fmac_f32_e32 v1, 0xa3056dbb, v0
	v_mov_b32_e32 v3, 0x23056dbb
	v_fmac_f32_e32 v3, v0, v1
	v_add_f32_e32 v3, 0x244df0c1, v3
	v_fma_f32 v1, v0, v3, -v1
	v_add_f32_e32 v1, 0x241f9ee8, v1
	v_fma_f32 v3, v0, v1, -v3
	v_add_f32_e32 v3, 0xa5a3005d, v3
	v_fma_f32 v1, v0, v3, -v1
	v_add_f32_e32 v1, 0xa5c5773f, v1
	v_fma_f32 v3, v0, v1, -v3
	v_add_f32_e32 v3, 0x26ff73ed, v3
	v_fma_f32 v1, v0, v3, -v1
	v_add_f32_e32 v1, 0x2789548d, v1
	v_fma_f32 v3, v0, v1, -v3
	v_add_f32_e32 v3, 0xa82c1ff4, v3
	v_fma_f32 v1, v0, v3, -v1
	v_add_f32_e32 v1, 0xa93aecce, v1
	v_fma_f32 v3, v0, v1, -v3
	v_add_f32_e32 v3, 0x288ab7f8, v3
	v_fma_f32 v1, v0, v3, -v1
	v_add_f32_e32 v1, 0x2ad8e463, v1
	v_fma_f32 v3, v0, v1, -v3
	v_add_f32_e32 v3, 0x2b4a1a40, v3
	v_fma_f32 v1, v0, v3, -v1
	v_add_f32_e32 v1, 0xabfc8218, v1
	v_fma_f32 v3, v0, v1, -v3
	v_add_f32_e32 v3, 0xad687eba, v3
	v_fma_f32 v1, v0, v3, -v1
	v_add_f32_e32 v1, 0xae0a88e8, v1
	v_fma_f32 v3, v0, v1, -v3
	v_add_f32_e32 v3, 0x2d5127f5, v3
	v_fma_f32 v1, v0, v3, -v1
	v_add_f32_e32 v1, 0x3007ce66, v1
	v_fma_f32 v3, v0, v1, -v3
	v_add_f32_e32 v3, 0x31696325, v3
	v_fma_f32 v1, v0, v3, -v1
	v_add_f32_e32 v1, 0x32c2b494, v1
	v_mul_f32_e32 v4, 0x3fb8aa3b, v2
	v_fma_f32 v3, v0, v1, -v3
	v_rndne_f32_e32 v5, v4
	v_add_f32_e32 v3, 0x345c003f, v3
	v_sub_f32_e32 v6, v4, v5
	v_fma_f32 v4, v2, s4, -v4
	v_fma_f32 v1, v0, v3, -v1
	v_fmac_f32_e32 v4, 0x32a5705f, v2
	v_add_f32_e32 v1, 0x3642095e, v1
	v_add_f32_e32 v4, v6, v4
	v_fma_f32 v3, v0, v1, -v3
	v_exp_f32_e32 v4, v4
	v_cvt_i32_f32_e32 v5, v5
	v_add_f32_e32 v3, 0x38907d1c, v3
	v_fma_f32 v1, v0, v3, -v1
	v_add_f32_e32 v1, 0x3b5ccc65, v1
	s_mov_b32 s4, 0xc2ce8ed0
	v_fma_f32 v0, v0, v1, -v3
	v_ldexp_f32 v1, v4, v5
	v_cmp_ngt_f32_e32 vcc, s4, v2
	s_mov_b32 s4, 0x42b17218
	v_cndmask_b32_e32 v1, 0, v1, vcc
	v_mov_b32_e32 v4, 0x7f800000
	v_cmp_nlt_f32_e32 vcc, s4, v2
	s_mov_b32 s4, 0xf800000
	v_cndmask_b32_e32 v1, v4, v1, vcc
	v_mul_f32_e32 v4, 0x4f800000, v2
	v_cmp_gt_f32_e32 vcc, s4, v2
	v_cndmask_b32_e32 v4, v2, v4, vcc
	v_sqrt_f32_e32 v5, v4
	v_add_f32_e32 v0, 0x3f4df315, v0
	v_sub_f32_e32 v0, v0, v3
	v_mul_f32_e32 v0, 0.5, v0
	v_mul_f32_e32 v0, v1, v0
	v_add_u32_e32 v1, -1, v5
	v_fma_f32 v3, -v1, v5, v4
	v_cmp_ge_f32_e64 s[4:5], 0, v3
	v_add_u32_e32 v3, 1, v5
	v_cndmask_b32_e64 v1, v5, v1, s[4:5]
	v_fma_f32 v5, -v3, v5, v4
	v_cmp_lt_f32_e64 s[4:5], 0, v5
	v_cndmask_b32_e64 v1, v1, v3, s[4:5]
	v_mul_f32_e32 v3, 0x37800000, v1
	v_cndmask_b32_e32 v1, v1, v3, vcc
	v_mov_b32_e32 v3, 0x260
	v_cmp_class_f32_e32 vcc, v4, v3
	v_cndmask_b32_e32 v1, v1, v4, vcc
	v_div_scale_f32 v3, s[4:5], v1, v1, v0
	v_rcp_f32_e32 v4, v3
	v_fma_f32 v5, -v3, v4, 1.0
	v_fmac_f32_e32 v4, v5, v4
	v_div_scale_f32 v5, vcc, v0, v1, v0
	v_mul_f32_e32 v6, v5, v4
	v_fma_f32 v7, -v3, v6, v5
	v_fmac_f32_e32 v6, v7, v4
	v_fma_f32 v3, -v3, v6, v5
	v_div_fmas_f32 v3, v3, v4, v6
	v_div_fixup_f32 v4, v3, v1, v0
.LBB20_58:
	s_or_b64 exec, exec, s[14:15]
	v_fma_f32 v0, v2, v2, -2.0
	v_mov_b32_e32 v1, 0x293fd856
	v_fmac_f32_e32 v1, 0x251e770f, v0
	v_mov_b32_e32 v3, 0xa51e770f
	v_fmac_f32_e32 v3, v0, v1
	v_add_f32_e32 v3, 0x2d3612e2, v3
	v_fma_f32 v1, v0, v3, -v1
	v_add_f32_e32 v1, 0x3102e09b, v1
	v_fma_f32 v3, v0, v1, -v3
	;; [unrolled: 2-line block ×7, first 2 shown]
	v_cvt_f64_f32_e32 v[2:3], v2
	v_mul_f64 v[2:3], v[2:3], 0.5
	s_mov_b32 s4, 0x55555555
	v_frexp_mant_f64_e32 v[6:7], v[2:3]
	s_mov_b32 s5, 0x3fe55555
	v_mov_b32_e32 v8, 0x3ff00000
	v_cmp_gt_f64_e32 vcc, s[4:5], v[6:7]
	v_cndmask_b32_e64 v9, v8, 2.0, vcc
	v_mov_b32_e32 v8, 0
	v_mul_f64 v[6:7], v[6:7], v[8:9]
	v_add_f64 v[8:9], v[6:7], 1.0
	v_rcp_f64_e32 v[10:11], v[8:9]
	v_add_f64 v[14:15], v[8:9], -1.0
	v_add_f64 v[12:13], v[6:7], -1.0
	v_add_f64 v[6:7], v[6:7], -v[14:15]
	v_fma_f64 v[14:15], -v[8:9], v[10:11], 1.0
	v_fmac_f64_e32 v[10:11], v[14:15], v[10:11]
	v_fma_f64 v[14:15], -v[8:9], v[10:11], 1.0
	v_fmac_f64_e32 v[10:11], v[14:15], v[10:11]
	v_mul_f64 v[14:15], v[12:13], v[10:11]
	v_mul_f64 v[16:17], v[8:9], v[14:15]
	v_fma_f64 v[8:9], v[14:15], v[8:9], -v[16:17]
	v_fmac_f64_e32 v[8:9], v[14:15], v[6:7]
	v_add_f64 v[6:7], v[16:17], v[8:9]
	v_add_f64 v[18:19], v[12:13], -v[6:7]
	v_add_f64 v[16:17], v[6:7], -v[16:17]
	v_add_f64 v[12:13], v[12:13], -v[18:19]
	v_add_f64 v[6:7], v[12:13], -v[6:7]
	v_add_f64 v[8:9], v[16:17], -v[8:9]
	v_add_f64 v[6:7], v[8:9], v[6:7]
	v_add_f64 v[6:7], v[18:19], v[6:7]
	v_mul_f64 v[6:7], v[10:11], v[6:7]
	v_add_f64 v[8:9], v[14:15], v[6:7]
	v_add_f64 v[10:11], v[8:9], -v[14:15]
	s_mov_b32 s4, 0xbf559e2b
	v_add_f64 v[6:7], v[6:7], -v[10:11]
	v_mul_f64 v[10:11], v[8:9], v[8:9]
	v_mov_b32_e32 v12, 0x6b47b09a
	v_mov_b32_e32 v13, 0x3fc38538
	s_mov_b32 s5, 0x3fc3ab76
	v_fmac_f64_e32 v[12:13], s[4:5], v[10:11]
	v_mov_b32_e32 v14, 0xd7f4df2e
	v_mov_b32_e32 v15, 0x3fc7474d
	v_fmac_f64_e32 v[14:15], v[10:11], v[12:13]
	v_mov_b32_e32 v12, 0x16291751
	v_mov_b32_e32 v13, 0x3fcc71c0
	;; [unrolled: 3-line block ×5, first 2 shown]
	v_fmac_f64_e32 v[14:15], v[10:11], v[12:13]
	v_ldexp_f64 v[12:13], v[8:9], 1
	v_mul_f64 v[8:9], v[8:9], v[10:11]
	v_mul_f64 v[8:9], v[8:9], v[14:15]
	v_add_f64 v[10:11], v[12:13], v[8:9]
	v_add_f64 v[12:13], v[10:11], -v[12:13]
	v_ldexp_f64 v[6:7], v[6:7], 1
	v_add_f64 v[8:9], v[8:9], -v[12:13]
	v_add_f64 v[6:7], v[6:7], v[8:9]
	v_frexp_exp_i32_f64_e32 v5, v[2:3]
	v_add_f64 v[8:9], v[10:11], v[6:7]
	v_subbrev_co_u32_e32 v5, vcc, 0, v5, vcc
	v_add_f64 v[10:11], v[8:9], -v[10:11]
	s_mov_b32 s4, 0xfefa39ef
	v_add_f64 v[6:7], v[6:7], -v[10:11]
	v_cvt_f64_i32_e32 v[10:11], v5
	s_mov_b32 s5, 0x3fe62e42
	v_mul_f64 v[12:13], v[10:11], s[4:5]
	v_fma_f64 v[14:15], v[10:11], s[4:5], -v[12:13]
	s_mov_b32 s4, 0x3b39803f
	s_mov_b32 s5, 0x3c7abc9e
	v_fmac_f64_e32 v[14:15], s[4:5], v[10:11]
	v_add_f64 v[10:11], v[12:13], v[14:15]
	v_add_f64 v[12:13], v[10:11], -v[12:13]
	v_add_f64 v[12:13], v[14:15], -v[12:13]
	v_add_f64 v[14:15], v[10:11], v[8:9]
	v_add_f64 v[16:17], v[14:15], -v[10:11]
	v_add_f64 v[18:19], v[14:15], -v[16:17]
	v_add_f64 v[10:11], v[10:11], -v[18:19]
	v_add_f64 v[8:9], v[8:9], -v[16:17]
	v_add_f64 v[8:9], v[8:9], v[10:11]
	v_add_f64 v[10:11], v[12:13], v[6:7]
	v_add_f64 v[16:17], v[10:11], -v[12:13]
	v_add_f64 v[18:19], v[10:11], -v[16:17]
	v_add_f64 v[8:9], v[10:11], v[8:9]
	v_add_f64 v[12:13], v[12:13], -v[18:19]
	v_add_f64 v[6:7], v[6:7], -v[16:17]
	v_add_f64 v[10:11], v[14:15], v[8:9]
	v_add_f64 v[6:7], v[6:7], v[12:13]
	v_add_f64 v[12:13], v[10:11], -v[14:15]
	v_add_f64 v[8:9], v[8:9], -v[12:13]
	s_mov_b32 s4, 0
	v_add_f32_e32 v0, 0xbf090b37, v0
	v_add_f64 v[6:7], v[6:7], v[8:9]
	s_mov_b32 s5, 0x7ff00000
	v_sub_f32_e32 v0, v0, v1
	v_add_f64 v[6:7], v[10:11], v[6:7]
	v_cmp_eq_f64_e32 vcc, s[4:5], v[2:3]
	v_mul_f32_e32 v0, 0.5, v0
	v_cndmask_b32_e32 v5, v6, v2, vcc
	v_cndmask_b32_e32 v6, v7, v3, vcc
	v_mov_b32_e32 v7, 0xfff00000
	v_cmp_neq_f64_e32 vcc, 0, v[2:3]
	v_cvt_f64_f32_e32 v[0:1], v0
	v_cndmask_b32_e32 v3, v7, v6, vcc
	v_cndmask_b32_e32 v2, 0, v5, vcc
	v_cvt_f64_f32_e32 v[4:5], v4
	v_fma_f64 v[0:1], -v[2:3], v[4:5], v[0:1]
	v_cvt_f32_f64_e32 v0, v[0:1]
                                        ; implicit-def: $vgpr2
.LBB20_59:
	s_andn2_saveexec_b64 s[12:13], s[12:13]
	s_cbranch_execz .LBB20_61
; %bb.60:
	s_mov_b32 s14, 0x41000000
	v_div_scale_f32 v0, s[4:5], v2, v2, s14
	v_rcp_f32_e32 v1, v0
	v_div_scale_f32 v3, vcc, s14, v2, s14
	s_mov_b32 s4, 0xbfb8aa3b
	v_fma_f32 v4, -v0, v1, 1.0
	v_fmac_f32_e32 v1, v4, v1
	v_mul_f32_e32 v4, v3, v1
	v_fma_f32 v5, -v0, v4, v3
	v_fmac_f32_e32 v4, v5, v1
	v_fma_f32 v0, -v0, v4, v3
	v_div_fmas_f32 v0, v0, v1, v4
	v_div_fixup_f32 v0, v0, v2, s14
	v_add_f32_e32 v0, -2.0, v0
	v_mov_b32_e32 v1, 0xa397f665
	v_fmac_f32_e32 v1, 0x22c38d2e, v0
	v_mov_b32_e32 v3, 0xa2c38d2e
	v_fmac_f32_e32 v3, v0, v1
	v_add_f32_e32 v3, 0x24704972, v3
	v_fma_f32 v1, v0, v3, -v1
	v_add_f32_e32 v1, 0xa5417ca4, v1
	v_fma_f32 v3, v0, v1, -v3
	;; [unrolled: 2-line block ×17, first 2 shown]
	v_add_f32_e32 v1, 0xb5f5daa4, v1
	v_mul_f32_e32 v4, 0xbfb8aa3b, v2
	v_fma_f32 v3, v0, v1, -v3
	v_rndne_f32_e32 v5, v4
	v_add_f32_e32 v3, 0x376a09fe, v3
	v_sub_f32_e32 v6, v4, v5
	v_fma_f32 v4, v2, s4, -v4
	v_fma_f32 v1, v0, v3, -v1
	v_fmac_f32_e32 v4, 0xb2a5705f, v2
	v_add_f32_e32 v1, 0xb906bcbf, v1
	v_add_f32_e32 v4, v6, v4
	v_fma_f32 v3, v0, v1, -v3
	v_exp_f32_e32 v4, v4
	v_cvt_i32_f32_e32 v5, v5
	v_add_f32_e32 v3, 0x3acdc490, v3
	v_fma_f32 v1, v0, v3, -v1
	v_add_f32_e32 v1, 0xbd00cfb9, v1
	s_mov_b32 s4, 0x42ce8ed0
	v_fma_f32 v0, v0, v1, -v3
	v_ldexp_f32 v1, v4, v5
	v_cmp_nlt_f32_e32 vcc, s4, v2
	s_mov_b32 s4, 0xc2b17218
	v_cndmask_b32_e32 v1, 0, v1, vcc
	v_mov_b32_e32 v4, 0x7f800000
	v_cmp_ngt_f32_e32 vcc, s4, v2
	s_mov_b32 s4, 0xf800000
	v_cndmask_b32_e32 v1, v4, v1, vcc
	v_mul_f32_e32 v4, 0x4f800000, v2
	v_cmp_gt_f32_e32 vcc, s4, v2
	v_cndmask_b32_e32 v2, v2, v4, vcc
	v_sqrt_f32_e32 v4, v2
	v_add_f32_e32 v0, 0x401c2ded, v0
	v_sub_f32_e32 v0, v0, v3
	v_mul_f32_e32 v0, 0.5, v0
	v_mul_f32_e32 v0, v1, v0
	v_add_u32_e32 v1, -1, v4
	v_fma_f32 v3, -v1, v4, v2
	v_cmp_ge_f32_e64 s[4:5], 0, v3
	v_add_u32_e32 v3, 1, v4
	v_cndmask_b32_e64 v1, v4, v1, s[4:5]
	v_fma_f32 v4, -v3, v4, v2
	v_cmp_lt_f32_e64 s[4:5], 0, v4
	v_cndmask_b32_e64 v1, v1, v3, s[4:5]
	v_mul_f32_e32 v3, 0x37800000, v1
	v_cndmask_b32_e32 v1, v1, v3, vcc
	v_mov_b32_e32 v3, 0x260
	v_cmp_class_f32_e32 vcc, v2, v3
	v_cndmask_b32_e32 v1, v1, v2, vcc
	v_div_scale_f32 v2, s[4:5], v1, v1, v0
	v_rcp_f32_e32 v3, v2
	v_fma_f32 v4, -v2, v3, 1.0
	v_fmac_f32_e32 v3, v4, v3
	v_div_scale_f32 v4, vcc, v0, v1, v0
	v_mul_f32_e32 v5, v4, v3
	v_fma_f32 v6, -v2, v5, v4
	v_fmac_f32_e32 v5, v6, v3
	v_fma_f32 v2, -v2, v5, v4
	v_div_fmas_f32 v2, v2, v3, v5
	v_div_fixup_f32 v0, v2, v1, v0
.LBB20_61:
	s_or_b64 exec, exec, s[12:13]
.LBB20_62:
	s_or_b64 exec, exec, s[10:11]
.LBB20_63:
	s_or_b64 exec, exec, s[8:9]
	s_or_b64 exec, exec, s[6:7]
	s_setpc_b64 s[30:31]
.LBB20_64:
	v_mov_b32_e32 v2, 28
	v_cmp_gt_i16_sdwa s[8:9], v3, v2 src0_sel:BYTE_0 src1_sel:DWORD
	s_mov_b64 s[14:15], 0
                                        ; implicit-def: $vgpr2
	s_and_saveexec_b64 s[16:17], s[8:9]
	s_xor_b64 s[8:9], exec, s[16:17]
	s_cbranch_execz .LBB20_80
; %bb.65:
	v_mov_b32_e32 v2, 43
	v_cmp_gt_i16_sdwa s[12:13], v3, v2 src0_sel:BYTE_0 src1_sel:DWORD
	s_mov_b64 s[16:17], 0
	s_mov_b64 s[18:19], 0
                                        ; implicit-def: $vgpr2
	s_and_saveexec_b64 s[14:15], s[12:13]
	s_xor_b64 s[12:13], exec, s[14:15]
	s_cbranch_execz .LBB20_75
; %bb.66:
	v_mov_b32_e32 v2, 45
	v_cmp_gt_i16_sdwa s[18:19], v3, v2 src0_sel:BYTE_0 src1_sel:DWORD
	s_mov_b64 s[14:15], 0
                                        ; implicit-def: $vgpr2
	s_and_saveexec_b64 s[20:21], s[18:19]
	s_xor_b64 s[18:19], exec, s[20:21]
	s_cbranch_execz .LBB20_70
; %bb.67:
	v_mov_b32_e32 v2, 46
	v_cmp_eq_u16_sdwa s[22:23], v3, v2 src0_sel:BYTE_0 src1_sel:DWORD
	s_mov_b64 s[20:21], -1
                                        ; implicit-def: $vgpr2
	s_and_saveexec_b64 s[16:17], s[22:23]
	s_cbranch_execz .LBB20_69
; %bb.68:
	flat_load_dword v2, v[0:1]
	s_mov_b64 s[14:15], exec
	s_xor_b64 s[20:21], exec, -1
	s_waitcnt vmcnt(0) lgkmcnt(0)
	v_lshlrev_b32_e32 v2, 16, v2
.LBB20_69:
	s_or_b64 exec, exec, s[16:17]
	s_and_b64 s[16:17], s[14:15], exec
	s_and_b64 s[14:15], s[20:21], exec
                                        ; implicit-def: $vgpr3
.LBB20_70:
	s_andn2_saveexec_b64 s[18:19], s[18:19]
	s_cbranch_execz .LBB20_74
; %bb.71:
	v_mov_b32_e32 v2, 44
	v_cmp_eq_u16_sdwa s[26:27], v3, v2 src0_sel:BYTE_0 src1_sel:DWORD
	s_mov_b64 s[24:25], -1
	s_mov_b64 s[22:23], s[16:17]
                                        ; implicit-def: $vgpr2
	s_and_saveexec_b64 s[20:21], s[26:27]
	s_cbranch_execz .LBB20_73
; %bb.72:
	flat_load_ubyte v2, v[0:1]
	s_movk_i32 s24, 0xff
	v_mov_b32_e32 v3, 0x7f800001
	v_mov_b32_e32 v4, 0x400000
	s_or_b64 s[22:23], s[16:17], exec
	s_waitcnt vmcnt(0) lgkmcnt(0)
	v_lshlrev_b32_e32 v5, 23, v2
	v_cmp_ne_u32_e32 vcc, s24, v2
	v_cndmask_b32_e32 v3, v3, v5, vcc
	v_cmp_ne_u32_e32 vcc, 0, v2
	v_cndmask_b32_e32 v2, v4, v3, vcc
	s_xor_b64 s[24:25], exec, -1
.LBB20_73:
	s_or_b64 exec, exec, s[20:21]
	s_andn2_b64 s[16:17], s[16:17], exec
	s_and_b64 s[20:21], s[22:23], exec
	s_or_b64 s[16:17], s[16:17], s[20:21]
	s_andn2_b64 s[14:15], s[14:15], exec
	s_and_b64 s[20:21], s[24:25], exec
	s_or_b64 s[14:15], s[14:15], s[20:21]
.LBB20_74:
	s_or_b64 exec, exec, s[18:19]
	s_and_b64 s[18:19], s[16:17], exec
	s_and_b64 s[16:17], s[14:15], exec
                                        ; implicit-def: $vgpr3
.LBB20_75:
	s_andn2_saveexec_b64 s[12:13], s[12:13]
	s_cbranch_execz .LBB20_79
; %bb.76:
	v_mov_b32_e32 v2, 29
	v_cmp_eq_u16_sdwa s[24:25], v3, v2 src0_sel:BYTE_0 src1_sel:DWORD
	s_mov_b64 s[20:21], -1
	s_mov_b64 s[22:23], s[18:19]
                                        ; implicit-def: $vgpr2
	s_and_saveexec_b64 s[14:15], s[24:25]
	s_cbranch_execz .LBB20_78
; %bb.77:
	flat_load_dwordx2 v[2:3], v[0:1]
	s_or_b64 s[22:23], s[18:19], exec
	s_xor_b64 s[20:21], exec, -1
	s_waitcnt vmcnt(0) lgkmcnt(0)
	v_ffbh_u32_e32 v4, v3
	v_min_u32_e32 v4, 32, v4
	v_lshlrev_b64 v[2:3], v4, v[2:3]
	v_min_u32_e32 v2, 1, v2
	v_or_b32_e32 v2, v3, v2
	v_cvt_f32_u32_e32 v2, v2
	v_sub_u32_e32 v3, 32, v4
	v_ldexp_f32 v2, v2, v3
.LBB20_78:
	s_or_b64 exec, exec, s[14:15]
	s_andn2_b64 s[14:15], s[18:19], exec
	s_and_b64 s[18:19], s[22:23], exec
	s_or_b64 s[18:19], s[14:15], s[18:19]
	s_andn2_b64 s[14:15], s[16:17], exec
	s_and_b64 s[16:17], s[20:21], exec
	s_or_b64 s[16:17], s[14:15], s[16:17]
.LBB20_79:
	s_or_b64 exec, exec, s[12:13]
	s_and_b64 s[14:15], s[18:19], exec
	s_and_b64 s[12:13], s[16:17], exec
                                        ; implicit-def: $vgpr3
.LBB20_80:
	s_andn2_saveexec_b64 s[8:9], s[8:9]
	s_cbranch_execz .LBB20_94
; %bb.81:
	v_mov_b32_e32 v2, 26
	v_cmp_gt_i16_sdwa s[16:17], v3, v2 src0_sel:BYTE_0 src1_sel:DWORD
                                        ; implicit-def: $vgpr2
	s_and_saveexec_b64 s[18:19], s[16:17]
	s_xor_b64 s[16:17], exec, s[18:19]
	s_cbranch_execz .LBB20_87
; %bb.82:
	v_mov_b32_e32 v2, 27
	v_cmp_gt_i16_sdwa s[18:19], v3, v2 src0_sel:BYTE_0 src1_sel:DWORD
                                        ; implicit-def: $vgpr2
	s_and_saveexec_b64 s[20:21], s[18:19]
	s_xor_b64 s[18:19], exec, s[20:21]
	s_cbranch_execz .LBB20_84
; %bb.83:
	flat_load_dword v2, v[0:1]
	s_waitcnt vmcnt(0) lgkmcnt(0)
	v_cvt_f32_u32_e32 v2, v2
.LBB20_84:
	s_andn2_saveexec_b64 s[18:19], s[18:19]
	s_cbranch_execz .LBB20_86
; %bb.85:
	flat_load_ushort v2, v[0:1]
	s_waitcnt vmcnt(0) lgkmcnt(0)
	v_cvt_f32_u32_e32 v2, v2
.LBB20_86:
	s_or_b64 exec, exec, s[18:19]
.LBB20_87:
	s_andn2_saveexec_b64 s[16:17], s[16:17]
	s_cbranch_execz .LBB20_93
; %bb.88:
	flat_load_ubyte v3, v[0:1]
	s_movk_i32 s18, 0x7f
                                        ; implicit-def: $sgpr24
	s_waitcnt vmcnt(0) lgkmcnt(0)
	v_cmp_lt_i16_e32 vcc, s18, v3
	s_mov_b64 s[18:19], 0
	s_and_saveexec_b64 s[20:21], vcc
	s_xor_b64 s[20:21], exec, s[20:21]
	s_cbranch_execnz .LBB20_119
; %bb.89:
	s_or_saveexec_b64 s[20:21], s[20:21]
	v_mov_b32_e32 v2, s24
	s_xor_b64 exec, exec, s[20:21]
	s_cbranch_execnz .LBB20_122
.LBB20_90:
	s_or_b64 exec, exec, s[20:21]
	s_and_saveexec_b64 s[20:21], s[18:19]
	s_cbranch_execz .LBB20_92
.LBB20_91:
	v_lshlrev_b32_e32 v2, 24, v3
	v_and_b32_e32 v3, 0xffff, v3
	v_and_b32_e32 v4, 7, v3
	v_ffbh_u32_e32 v6, v4
	v_min_u32_e32 v6, 32, v6
	v_subrev_u32_e32 v7, 28, v6
	v_bfe_u32 v5, v3, 3, 4
	v_lshlrev_b32_e32 v3, v7, v3
	v_sub_u32_e32 v6, 29, v6
	v_and_b32_e32 v3, 7, v3
	v_cmp_eq_u32_e32 vcc, 0, v5
	v_cndmask_b32_e32 v5, v5, v6, vcc
	v_cndmask_b32_e32 v3, v4, v3, vcc
	v_mov_b32_e32 v4, 0x3b800000
	v_lshlrev_b32_e32 v3, 20, v3
	v_and_b32_e32 v2, 0x80000000, v2
	v_lshl_add_u32 v4, v5, 23, v4
	v_or3_b32 v2, v2, v4, v3
.LBB20_92:
	s_or_b64 exec, exec, s[20:21]
.LBB20_93:
	s_or_b64 exec, exec, s[16:17]
	s_or_b64 s[14:15], s[14:15], exec
.LBB20_94:
	s_or_b64 exec, exec, s[8:9]
	s_and_b64 s[8:9], s[14:15], exec
	s_and_b64 s[12:13], s[12:13], exec
                                        ; implicit-def: $vgpr3
	s_andn2_saveexec_b64 s[10:11], s[10:11]
	s_cbranch_execz .LBB20_6
.LBB20_95:
	v_mov_b32_e32 v2, 22
	v_cmp_gt_i16_sdwa s[6:7], v3, v2 src0_sel:BYTE_0 src1_sel:DWORD
	s_mov_b64 s[14:15], s[8:9]
                                        ; implicit-def: $vgpr2
	s_and_saveexec_b64 s[16:17], s[6:7]
	s_xor_b64 s[6:7], exec, s[16:17]
	s_cbranch_execz .LBB20_109
; %bb.96:
	v_mov_b32_e32 v2, 23
	v_cmp_gt_i16_sdwa s[14:15], v3, v2 src0_sel:BYTE_0 src1_sel:DWORD
                                        ; implicit-def: $vgpr2
	s_and_saveexec_b64 s[16:17], s[14:15]
	s_xor_b64 s[14:15], exec, s[16:17]
	s_cbranch_execz .LBB20_106
; %bb.97:
	v_mov_b32_e32 v2, 24
	v_cmp_gt_i16_sdwa s[16:17], v3, v2 src0_sel:BYTE_0 src1_sel:DWORD
                                        ; implicit-def: $vgpr2
	s_and_saveexec_b64 s[18:19], s[16:17]
	s_xor_b64 s[16:17], exec, s[18:19]
	s_cbranch_execz .LBB20_103
; %bb.98:
	flat_load_ubyte v3, v[0:1]
	s_movk_i32 s18, 0x7f
                                        ; implicit-def: $sgpr24
	s_waitcnt vmcnt(0) lgkmcnt(0)
	v_cmp_lt_i16_e32 vcc, s18, v3
	s_mov_b64 s[18:19], 0
	s_and_saveexec_b64 s[20:21], vcc
	s_xor_b64 s[20:21], exec, s[20:21]
	s_cbranch_execnz .LBB20_123
; %bb.99:
	s_or_saveexec_b64 s[20:21], s[20:21]
	v_mov_b32_e32 v2, s24
	s_xor_b64 exec, exec, s[20:21]
	s_cbranch_execnz .LBB20_126
.LBB20_100:
	s_or_b64 exec, exec, s[20:21]
	s_and_saveexec_b64 s[20:21], s[18:19]
	s_cbranch_execz .LBB20_102
.LBB20_101:
	v_lshlrev_b32_e32 v2, 24, v3
	v_and_b32_e32 v3, 0xffff, v3
	v_and_b32_e32 v4, 3, v3
	v_ffbh_u32_e32 v6, v4
	v_min_u32_e32 v6, 32, v6
	v_subrev_u32_e32 v7, 29, v6
	v_bfe_u32 v5, v3, 2, 5
	v_lshlrev_b32_e32 v3, v7, v3
	v_sub_u32_e32 v6, 30, v6
	v_and_b32_e32 v3, 3, v3
	v_cmp_eq_u32_e32 vcc, 0, v5
	v_cndmask_b32_e32 v5, v5, v6, vcc
	v_cndmask_b32_e32 v3, v4, v3, vcc
	v_mov_b32_e32 v4, 0x37800000
	v_lshlrev_b32_e32 v3, 21, v3
	v_and_b32_e32 v2, 0x80000000, v2
	v_lshl_add_u32 v4, v5, 23, v4
	v_or3_b32 v2, v2, v4, v3
.LBB20_102:
	s_or_b64 exec, exec, s[20:21]
.LBB20_103:
	s_andn2_saveexec_b64 s[16:17], s[16:17]
	s_cbranch_execz .LBB20_105
; %bb.104:
	flat_load_ubyte v2, v[0:1]
	s_mov_b32 s18, 0x7f800000
	s_waitcnt vmcnt(0) lgkmcnt(0)
	v_lshlrev_b32_e32 v2, 24, v2
	v_and_b32_e32 v3, 0x7f000000, v2
	v_ffbh_u32_e32 v4, v3
	v_min_u32_e32 v4, 32, v4
	v_sub_u32_e64 v4, v4, 4 clamp
	v_lshlrev_b32_e32 v6, v4, v3
	v_lshlrev_b32_e32 v4, 23, v4
	v_lshrrev_b32_e32 v6, 4, v6
	v_add_u32_e32 v5, 0x1000000, v3
	v_sub_u32_e32 v4, v6, v4
	v_ashrrev_i32_e32 v5, 8, v5
	v_add_u32_e32 v4, 0x3c000000, v4
	v_and_or_b32 v4, v5, s18, v4
	v_cmp_ne_u32_e32 vcc, 0, v3
	v_cndmask_b32_e32 v3, 0, v4, vcc
	s_brev_b32 s18, 1
	v_and_or_b32 v2, v2, s18, v3
.LBB20_105:
	s_or_b64 exec, exec, s[16:17]
.LBB20_106:
	s_andn2_saveexec_b64 s[14:15], s[14:15]
	s_cbranch_execz .LBB20_108
; %bb.107:
	flat_load_ubyte v2, v[0:1]
	s_movk_i32 s16, 0x7f00
	s_brev_b32 s17, 16
	s_waitcnt vmcnt(0) lgkmcnt(0)
	v_lshlrev_b16_e32 v3, 8, v2
	v_lshlrev_b32_e32 v2, 25, v2
	v_lshrrev_b32_e32 v4, 4, v2
	v_and_or_b32 v5, v3, s16, 0.5
	v_or_b32_e32 v4, 0x70000000, v4
	v_add_f32_e32 v5, -0.5, v5
	v_mul_f32_e32 v4, 0x7800000, v4
	v_cmp_gt_u32_e32 vcc, s17, v2
	v_bfe_i32 v3, v3, 0, 16
	v_cndmask_b32_e32 v2, v4, v5, vcc
	s_brev_b32 s16, 1
	v_and_or_b32 v2, v3, s16, v2
.LBB20_108:
	s_or_b64 exec, exec, s[14:15]
	s_or_b64 s[14:15], s[8:9], exec
                                        ; implicit-def: $vgpr3
.LBB20_109:
	s_or_saveexec_b64 s[6:7], s[6:7]
	s_mov_b64 s[18:19], 0
	s_mov_b64 s[16:17], s[12:13]
	s_xor_b64 exec, exec, s[6:7]
	s_cbranch_execz .LBB20_117
; %bb.110:
	v_mov_b32_e32 v2, 14
	v_cmp_gt_i16_sdwa s[20:21], v3, v2 src0_sel:BYTE_0 src1_sel:DWORD
	s_mov_b64 s[16:17], s[12:13]
	s_mov_b64 s[18:19], s[14:15]
                                        ; implicit-def: $vgpr2
	s_and_saveexec_b64 s[22:23], s[20:21]
	s_xor_b64 s[20:21], exec, s[22:23]
	s_cbranch_execz .LBB20_114
; %bb.111:
	v_mov_b32_e32 v2, 15
	v_cmp_eq_u16_sdwa s[24:25], v3, v2 src0_sel:BYTE_0 src1_sel:DWORD
	s_mov_b64 s[16:17], -1
	s_mov_b64 s[18:19], s[14:15]
                                        ; implicit-def: $vgpr2
	s_and_saveexec_b64 s[22:23], s[24:25]
	s_cbranch_execz .LBB20_113
; %bb.112:
	flat_load_ushort v2, v[0:1]
	s_or_b64 s[18:19], s[14:15], exec
	s_xor_b64 s[16:17], exec, -1
	s_waitcnt vmcnt(0) lgkmcnt(0)
	v_lshlrev_b32_e32 v2, 16, v2
.LBB20_113:
	s_or_b64 exec, exec, s[22:23]
	s_andn2_b64 s[22:23], s[14:15], exec
	s_and_b64 s[18:19], s[18:19], exec
	s_or_b64 s[18:19], s[22:23], s[18:19]
	s_andn2_b64 s[22:23], s[12:13], exec
	s_and_b64 s[16:17], s[16:17], exec
	s_or_b64 s[16:17], s[22:23], s[16:17]
                                        ; implicit-def: $vgpr3
.LBB20_114:
	s_or_saveexec_b64 s[20:21], s[20:21]
	s_mov_b64 s[22:23], 0
	s_xor_b64 exec, exec, s[20:21]
; %bb.115:
	v_mov_b32_e32 v2, 11
	v_cmp_ne_u16_sdwa s[24:25], v3, v2 src0_sel:BYTE_0 src1_sel:DWORD
	s_andn2_b64 s[16:17], s[16:17], exec
	s_and_b64 s[24:25], s[24:25], exec
	s_mov_b64 s[22:23], exec
	s_or_b64 s[16:17], s[16:17], s[24:25]
                                        ; implicit-def: $vgpr2
; %bb.116:
	s_or_b64 exec, exec, s[20:21]
	s_andn2_b64 s[14:15], s[14:15], exec
	s_and_b64 s[18:19], s[18:19], exec
	s_andn2_b64 s[20:21], s[12:13], exec
	s_and_b64 s[16:17], s[16:17], exec
	s_or_b64 s[14:15], s[14:15], s[18:19]
	s_and_b64 s[18:19], s[22:23], exec
	s_or_b64 s[16:17], s[20:21], s[16:17]
.LBB20_117:
	s_or_b64 exec, exec, s[6:7]
	s_andn2_b64 s[6:7], s[8:9], exec
	s_and_b64 s[8:9], s[14:15], exec
	s_andn2_b64 s[12:13], s[12:13], exec
	s_and_b64 s[14:15], s[16:17], exec
	s_or_b64 s[8:9], s[6:7], s[8:9]
	s_and_b64 s[6:7], s[18:19], exec
	s_or_b64 s[12:13], s[12:13], s[14:15]
	s_or_b64 exec, exec, s[10:11]
	s_and_saveexec_b64 s[10:11], s[12:13]
	s_cbranch_execz .LBB20_7
.LBB20_118:
	s_trap 2
	; divergent unreachable
	s_andn2_b64 s[6:7], s[6:7], exec
                                        ; implicit-def: $vgpr2
	s_or_b64 exec, exec, s[10:11]
	s_and_saveexec_b64 s[10:11], s[6:7]
	s_xor_b64 s[6:7], exec, s[10:11]
	s_cbranch_execnz .LBB20_8
	s_branch .LBB20_9
.LBB20_119:
	s_movk_i32 s18, 0x80
	v_cmp_eq_u16_e32 vcc, s18, v3
	s_mov_b64 s[18:19], -1
                                        ; implicit-def: $sgpr24
	s_and_saveexec_b64 s[22:23], vcc
; %bb.120:
	s_mov_b32 s24, 0x7f800001
	s_xor_b64 s[18:19], exec, -1
; %bb.121:
	s_or_b64 exec, exec, s[22:23]
	s_and_b64 s[18:19], s[18:19], exec
	s_or_saveexec_b64 s[20:21], s[20:21]
	v_mov_b32_e32 v2, s24
	s_xor_b64 exec, exec, s[20:21]
	s_cbranch_execz .LBB20_90
.LBB20_122:
	v_cmp_ne_u16_e32 vcc, 0, v3
	s_andn2_b64 s[18:19], s[18:19], exec
	s_and_b64 s[22:23], vcc, exec
	v_mov_b32_e32 v2, 0
	s_or_b64 s[18:19], s[18:19], s[22:23]
	s_or_b64 exec, exec, s[20:21]
	s_and_saveexec_b64 s[20:21], s[18:19]
	s_cbranch_execnz .LBB20_91
	s_branch .LBB20_92
.LBB20_123:
	s_movk_i32 s18, 0x80
	v_cmp_eq_u16_e32 vcc, s18, v3
	s_mov_b64 s[18:19], -1
                                        ; implicit-def: $sgpr24
	s_and_saveexec_b64 s[22:23], vcc
; %bb.124:
	s_mov_b32 s24, 0x7f800001
	s_xor_b64 s[18:19], exec, -1
; %bb.125:
	s_or_b64 exec, exec, s[22:23]
	s_and_b64 s[18:19], s[18:19], exec
	s_or_saveexec_b64 s[20:21], s[20:21]
	v_mov_b32_e32 v2, s24
	s_xor_b64 exec, exec, s[20:21]
	s_cbranch_execz .LBB20_100
.LBB20_126:
	v_cmp_ne_u16_e32 vcc, 0, v3
	s_andn2_b64 s[18:19], s[18:19], exec
	s_and_b64 s[22:23], vcc, exec
	v_mov_b32_e32 v2, 0
	s_or_b64 s[18:19], s[18:19], s[22:23]
	s_or_b64 exec, exec, s[20:21]
	s_and_saveexec_b64 s[20:21], s[18:19]
	s_cbranch_execnz .LBB20_101
	s_branch .LBB20_102
.Lfunc_end20:
	.size	_ZN2at6native6invokeIZZZNS0_12_GLOBAL__N_130modified_bessel_k0_kernel_cudaERNS_18TensorIteratorBaseEENKUlvE_clEvENKUlvE0_clEvEUlfE_i15function_traitsIS7_EEENT1_11result_typeERKT_PrKPcPKT0_PKN3c1010ScalarTypeEi, .Lfunc_end20-_ZN2at6native6invokeIZZZNS0_12_GLOBAL__N_130modified_bessel_k0_kernel_cudaERNS_18TensorIteratorBaseEENKUlvE_clEvENKUlvE0_clEvEUlfE_i15function_traitsIS7_EEENT1_11result_typeERKT_PrKPcPKT0_PKN3c1010ScalarTypeEi
                                        ; -- End function
	.section	.AMDGPU.csdata,"",@progbits
; Function info:
; codeLenInByte = 5620
; NumSgprs: 36
; NumVgprs: 20
; NumAgprs: 0
; TotalNumVgprs: 20
; ScratchSize: 0
; MemoryBound: 1
	.section	.text._ZN2at6native32elementwise_kernel_manual_unrollILi128ELi4EZNS0_15gpu_kernel_implIZZZNS0_12_GLOBAL__N_130modified_bessel_k0_kernel_cudaERNS_18TensorIteratorBaseEENKUlvE_clEvENKUlvE0_clEvEUlfE_EEvS5_RKT_EUlibE_EEviT1_,"axG",@progbits,_ZN2at6native32elementwise_kernel_manual_unrollILi128ELi4EZNS0_15gpu_kernel_implIZZZNS0_12_GLOBAL__N_130modified_bessel_k0_kernel_cudaERNS_18TensorIteratorBaseEENKUlvE_clEvENKUlvE0_clEvEUlfE_EEvS5_RKT_EUlibE_EEviT1_,comdat
	.globl	_ZN2at6native32elementwise_kernel_manual_unrollILi128ELi4EZNS0_15gpu_kernel_implIZZZNS0_12_GLOBAL__N_130modified_bessel_k0_kernel_cudaERNS_18TensorIteratorBaseEENKUlvE_clEvENKUlvE0_clEvEUlfE_EEvS5_RKT_EUlibE_EEviT1_ ; -- Begin function _ZN2at6native32elementwise_kernel_manual_unrollILi128ELi4EZNS0_15gpu_kernel_implIZZZNS0_12_GLOBAL__N_130modified_bessel_k0_kernel_cudaERNS_18TensorIteratorBaseEENKUlvE_clEvENKUlvE0_clEvEUlfE_EEvS5_RKT_EUlibE_EEviT1_
	.p2align	8
	.type	_ZN2at6native32elementwise_kernel_manual_unrollILi128ELi4EZNS0_15gpu_kernel_implIZZZNS0_12_GLOBAL__N_130modified_bessel_k0_kernel_cudaERNS_18TensorIteratorBaseEENKUlvE_clEvENKUlvE0_clEvEUlfE_EEvS5_RKT_EUlibE_EEviT1_,@function
_ZN2at6native32elementwise_kernel_manual_unrollILi128ELi4EZNS0_15gpu_kernel_implIZZZNS0_12_GLOBAL__N_130modified_bessel_k0_kernel_cudaERNS_18TensorIteratorBaseEENKUlvE_clEvENKUlvE0_clEvEUlfE_EEvS5_RKT_EUlibE_EEviT1_: ; @_ZN2at6native32elementwise_kernel_manual_unrollILi128ELi4EZNS0_15gpu_kernel_implIZZZNS0_12_GLOBAL__N_130modified_bessel_k0_kernel_cudaERNS_18TensorIteratorBaseEENKUlvE_clEvENKUlvE0_clEvEUlfE_EEvS5_RKT_EUlibE_EEviT1_
; %bb.0:
	v_mov_b32_e32 v1, 0
	global_load_ushort v27, v1, s[4:5] offset:33
	s_load_dwordx4 s[36:39], s[4:5], 0x8
	s_load_dwordx2 s[28:29], s[4:5], 0x18
	s_load_dword s33, s[4:5], 0x0
	s_add_u32 flat_scratch_lo, s6, s9
	s_addc_u32 flat_scratch_hi, s7, 0
	v_lshl_or_b32 v21, s8, 9, v0
	s_add_u32 s0, s0, s9
	v_or_b32_e32 v25, 0x180, v21
	s_addc_u32 s1, s1, 0
	s_mov_b64 s[34:35], 0
	s_waitcnt lgkmcnt(0)
	v_cmp_le_i32_e32 vcc, s33, v25
	s_mov_b64 s[42:43], 0
	s_mov_b32 s32, 0
	s_waitcnt vmcnt(0)
	v_lshrrev_b16_e32 v23, 8, v27
	s_and_saveexec_b64 s[4:5], vcc
	s_xor_b64 s[40:41], exec, s[4:5]
	s_cbranch_execz .LBB21_508
; %bb.1:
	v_cmp_gt_i32_e32 vcc, s33, v21
	s_mov_b64 s[4:5], -1
	s_mov_b64 s[48:49], 0
	s_and_saveexec_b64 s[44:45], vcc
	s_cbranch_execz .LBB21_124
; %bb.2:
	v_mov_b32_e32 v0, s38
	v_mov_b32_e32 v1, s39
	v_mov_b32_e32 v2, s29
	v_mov_b32_e32 v3, v23
	v_mov_b32_e32 v4, v21
	s_getpc_b64 s[4:5]
	s_add_u32 s4, s4, _ZN2at6native6invokeIZZZNS0_12_GLOBAL__N_130modified_bessel_k0_kernel_cudaERNS_18TensorIteratorBaseEENKUlvE_clEvENKUlvE0_clEvEUlfE_i15function_traitsIS7_EEENT1_11result_typeERKT_PrKPcPKT0_PKN3c1010ScalarTypeEi@rel32@lo+4
	s_addc_u32 s5, s5, _ZN2at6native6invokeIZZZNS0_12_GLOBAL__N_130modified_bessel_k0_kernel_cudaERNS_18TensorIteratorBaseEENKUlvE_clEvENKUlvE0_clEvEUlfE_i15function_traitsIS7_EEENT1_11result_typeERKT_PrKPcPKT0_PKN3c1010ScalarTypeEi@rel32@hi+12
	s_swappc_b64 s[30:31], s[4:5]
	v_mul_lo_u32 v1, v21, s28
	v_ashrrev_i32_e32 v3, 31, v1
	v_mov_b32_e32 v4, s37
	v_add_co_u32_e32 v2, vcc, s36, v1
	v_mov_b32_e32 v1, 11
	v_addc_co_u32_e32 v3, vcc, v4, v3, vcc
	v_cmp_lt_i16_sdwa s[4:5], v27, v1 src0_sel:BYTE_0 src1_sel:DWORD
	s_and_b64 vcc, exec, s[4:5]
	s_cbranch_vccnz .LBB21_9
; %bb.3:
	v_mov_b32_e32 v1, 25
	v_cmp_gt_i16_sdwa s[4:5], v27, v1 src0_sel:BYTE_0 src1_sel:DWORD
	s_and_b64 vcc, exec, s[4:5]
	s_cbranch_vccz .LBB21_12
; %bb.4:
	v_mov_b32_e32 v1, 28
	v_cmp_gt_i16_sdwa s[4:5], v27, v1 src0_sel:BYTE_0 src1_sel:DWORD
	s_and_b64 vcc, exec, s[4:5]
	s_cbranch_vccz .LBB21_13
	;; [unrolled: 5-line block ×4, first 2 shown]
; %bb.7:
	v_mov_b32_e32 v1, 46
	v_cmp_eq_u16_sdwa s[6:7], v27, v1 src0_sel:BYTE_0 src1_sel:DWORD
	s_mov_b64 s[8:9], 0
	s_mov_b64 s[4:5], -1
	s_and_b64 vcc, exec, s[6:7]
	s_mov_b64 s[6:7], 0
	s_cbranch_vccz .LBB21_16
; %bb.8:
	v_bfe_u32 v1, v0, 16, 1
	s_movk_i32 s4, 0x7fff
	v_add3_u32 v1, v0, v1, s4
	v_lshrrev_b32_e32 v1, 16, v1
	v_mov_b32_e32 v4, 0x7fc0
	v_cmp_o_f32_e32 vcc, v0, v0
	v_cndmask_b32_e32 v1, v4, v1, vcc
	global_store_dword v[2:3], v1, off
	s_mov_b64 s[6:7], -1
	s_mov_b64 s[4:5], 0
	s_branch .LBB21_16
.LBB21_9:
	s_mov_b64 s[4:5], 0
	s_mov_b64 s[6:7], 0
	s_cbranch_execnz .LBB21_84
.LBB21_10:
	s_andn2_b64 vcc, exec, s[6:7]
	s_cbranch_vccnz .LBB21_122
.LBB21_11:
	v_add_u32_e32 v21, 0x80, v21
	s_mov_b64 s[6:7], -1
	s_branch .LBB21_123
.LBB21_12:
	s_mov_b64 s[4:5], 0
	s_mov_b64 s[6:7], 0
	s_cbranch_execnz .LBB21_43
	s_branch .LBB21_83
.LBB21_13:
	s_mov_b64 s[8:9], -1
	s_mov_b64 s[4:5], 0
	s_mov_b64 s[6:7], 0
	s_branch .LBB21_26
.LBB21_14:
	s_mov_b64 s[8:9], -1
	s_mov_b64 s[4:5], 0
	s_mov_b64 s[6:7], 0
	s_branch .LBB21_22
.LBB21_15:
	s_mov_b64 s[8:9], -1
	s_mov_b64 s[4:5], 0
	s_mov_b64 s[6:7], 0
.LBB21_16:
	s_and_b64 vcc, exec, s[8:9]
	s_cbranch_vccz .LBB21_21
; %bb.17:
	v_mov_b32_e32 v1, 44
	v_cmp_eq_u16_sdwa s[8:9], v27, v1 src0_sel:BYTE_0 src1_sel:DWORD
	s_mov_b64 s[4:5], -1
	s_and_b64 vcc, exec, s[8:9]
	s_cbranch_vccz .LBB21_21
; %bb.18:
	v_bfe_u32 v1, v0, 23, 8
	s_movk_i32 s4, 0xff
	v_cmp_ne_u32_e32 vcc, s4, v1
	v_mov_b32_e32 v4, 0xff
	s_and_saveexec_b64 s[6:7], vcc
; %bb.19:
	s_mov_b32 s4, 0x3fffff
	v_and_b32_e32 v5, 0x400000, v0
	v_and_or_b32 v1, v0, s4, v1
	v_cmp_ne_u32_e32 vcc, 0, v5
	v_cmp_ne_u32_e64 s[4:5], 0, v1
	s_and_b64 s[4:5], vcc, s[4:5]
	v_lshrrev_b32_e32 v4, 23, v0
	v_cndmask_b32_e64 v1, 0, 1, s[4:5]
	v_add_u32_e32 v4, v4, v1
; %bb.20:
	s_or_b64 exec, exec, s[6:7]
	s_mov_b64 s[6:7], -1
	s_mov_b64 s[4:5], 0
	global_store_byte v[2:3], v4, off
.LBB21_21:
	s_mov_b64 s[8:9], 0
.LBB21_22:
	s_and_b64 vcc, exec, s[8:9]
	s_cbranch_vccz .LBB21_25
; %bb.23:
	v_mov_b32_e32 v1, 29
	v_cmp_eq_u16_sdwa s[8:9], v27, v1 src0_sel:BYTE_0 src1_sel:DWORD
	s_mov_b64 s[4:5], -1
	s_and_b64 vcc, exec, s[8:9]
	s_cbranch_vccz .LBB21_25
; %bb.24:
	v_trunc_f32_e32 v1, v0
	v_mul_f32_e32 v4, 0x2f800000, v1
	v_floor_f32_e32 v4, v4
	v_fmac_f32_e32 v1, 0xcf800000, v4
	v_cvt_u32_f32_e32 v5, v4
	v_cvt_u32_f32_e32 v4, v1
	s_mov_b64 s[6:7], -1
	s_mov_b64 s[4:5], 0
	s_mov_b64 s[8:9], 0
	global_store_dwordx2 v[2:3], v[4:5], off
	s_branch .LBB21_26
.LBB21_25:
	s_mov_b64 s[8:9], 0
.LBB21_26:
	s_and_b64 vcc, exec, s[8:9]
	s_cbranch_vccz .LBB21_42
; %bb.27:
	v_mov_b32_e32 v1, 27
	v_cmp_lt_i16_sdwa s[8:9], v27, v1 src0_sel:BYTE_0 src1_sel:DWORD
	s_mov_b64 s[6:7], -1
	s_and_b64 vcc, exec, s[8:9]
	s_cbranch_vccnz .LBB21_33
; %bb.28:
	v_cmp_gt_i16_sdwa s[8:9], v27, v1 src0_sel:BYTE_0 src1_sel:DWORD
	v_cvt_u32_f32_e32 v1, v0
	s_and_b64 vcc, exec, s[8:9]
	s_cbranch_vccz .LBB21_30
; %bb.29:
	s_mov_b64 s[6:7], 0
	global_store_dword v[2:3], v1, off
.LBB21_30:
	s_andn2_b64 vcc, exec, s[6:7]
	s_cbranch_vccnz .LBB21_32
; %bb.31:
	global_store_short v[2:3], v1, off
.LBB21_32:
	s_mov_b64 s[6:7], 0
.LBB21_33:
	s_andn2_b64 vcc, exec, s[6:7]
	s_cbranch_vccnz .LBB21_41
; %bb.34:
	v_and_b32_e32 v1, 0x7fffffff, v0
	s_mov_b32 s6, 0x43800000
	v_cmp_gt_u32_e32 vcc, s6, v1
	v_mov_b32_e32 v4, 0x80
	s_and_saveexec_b64 s[6:7], vcc
	s_cbranch_execz .LBB21_40
; %bb.35:
	s_mov_b32 s8, 0x3bffffff
	v_cmp_lt_u32_e32 vcc, s8, v1
	s_mov_b64 s[8:9], 0
                                        ; implicit-def: $vgpr1
	s_and_saveexec_b64 s[10:11], vcc
	s_xor_b64 s[10:11], exec, s[10:11]
	s_cbranch_execz .LBB21_141
; %bb.36:
	v_bfe_u32 v1, v0, 20, 1
	s_mov_b32 s12, 0x487ffff
	v_add3_u32 v1, v0, v1, s12
	s_mov_b64 s[8:9], exec
	v_lshrrev_b32_e32 v1, 20, v1
	s_or_saveexec_b64 s[10:11], s[10:11]
                                        ; implicit-def: $sgpr12
	s_xor_b64 exec, exec, s[10:11]
	s_cbranch_execnz .LBB21_142
.LBB21_37:
	s_or_b64 exec, exec, s[10:11]
	v_mov_b32_e32 v4, s12
	s_and_saveexec_b64 s[10:11], s[8:9]
.LBB21_38:
	v_lshrrev_b32_e32 v4, 24, v0
	s_movk_i32 s8, 0x80
	v_and_or_b32 v4, v4, s8, v1
.LBB21_39:
	s_or_b64 exec, exec, s[10:11]
.LBB21_40:
	s_or_b64 exec, exec, s[6:7]
	global_store_byte v[2:3], v4, off
.LBB21_41:
	s_mov_b64 s[6:7], -1
.LBB21_42:
	s_branch .LBB21_83
.LBB21_43:
	v_mov_b32_e32 v1, 22
	v_cmp_gt_i16_sdwa s[10:11], v27, v1 src0_sel:BYTE_0 src1_sel:DWORD
	s_mov_b64 s[8:9], -1
	s_and_b64 vcc, exec, s[10:11]
	s_cbranch_vccz .LBB21_75
; %bb.44:
	v_mov_b32_e32 v1, 24
	v_cmp_lt_i16_sdwa s[8:9], v27, v1 src0_sel:BYTE_0 src1_sel:DWORD
	s_mov_b64 s[6:7], -1
	s_and_b64 vcc, exec, s[8:9]
	s_cbranch_vccnz .LBB21_64
; %bb.45:
	v_cmp_gt_i16_sdwa s[8:9], v27, v1 src0_sel:BYTE_0 src1_sel:DWORD
	s_and_b64 vcc, exec, s[8:9]
	s_cbranch_vccz .LBB21_53
; %bb.46:
	v_and_b32_e32 v1, 0x7fffffff, v0
	s_mov_b32 s6, 0x47800000
	v_cmp_gt_u32_e32 vcc, s6, v1
	v_mov_b32_e32 v4, 0x80
	s_and_saveexec_b64 s[6:7], vcc
	s_cbranch_execz .LBB21_52
; %bb.47:
	s_mov_b32 s8, 0x37ffffff
	v_cmp_lt_u32_e32 vcc, s8, v1
	s_mov_b64 s[8:9], 0
                                        ; implicit-def: $vgpr1
	s_and_saveexec_b64 s[10:11], vcc
	s_xor_b64 s[10:11], exec, s[10:11]
	s_cbranch_execz .LBB21_144
; %bb.48:
	v_bfe_u32 v1, v0, 21, 1
	s_mov_b32 s12, 0x88fffff
	v_add3_u32 v1, v0, v1, s12
	s_mov_b64 s[8:9], exec
	v_lshrrev_b32_e32 v1, 21, v1
	s_or_saveexec_b64 s[10:11], s[10:11]
                                        ; implicit-def: $sgpr12
	s_xor_b64 exec, exec, s[10:11]
	s_cbranch_execnz .LBB21_145
.LBB21_49:
	s_or_b64 exec, exec, s[10:11]
	v_mov_b32_e32 v4, s12
	s_and_saveexec_b64 s[10:11], s[8:9]
.LBB21_50:
	v_lshrrev_b32_e32 v4, 24, v0
	s_movk_i32 s8, 0x80
	v_and_or_b32 v4, v4, s8, v1
.LBB21_51:
	s_or_b64 exec, exec, s[10:11]
.LBB21_52:
	s_or_b64 exec, exec, s[6:7]
	s_mov_b64 s[6:7], 0
	global_store_byte v[2:3], v4, off
.LBB21_53:
	s_and_b64 vcc, exec, s[6:7]
	s_cbranch_vccz .LBB21_63
; %bb.54:
	v_and_b32_e32 v4, 0x7fffffff, v0
	s_mov_b32 s6, 0x43f00000
	v_cmp_gt_u32_e32 vcc, s6, v4
                                        ; implicit-def: $vgpr1
	s_and_saveexec_b64 s[6:7], vcc
	s_xor_b64 s[6:7], exec, s[6:7]
	s_cbranch_execz .LBB21_60
; %bb.55:
	s_mov_b32 s8, 0x3c7fffff
	v_cmp_lt_u32_e32 vcc, s8, v4
                                        ; implicit-def: $vgpr1
	s_and_saveexec_b64 s[8:9], vcc
	s_xor_b64 s[8:9], exec, s[8:9]
; %bb.56:
	v_bfe_u32 v1, v0, 20, 1
	s_mov_b32 s10, 0x407ffff
	v_add3_u32 v1, v0, v1, s10
	v_lshrrev_b32_e32 v4, 20, v1
	v_and_b32_e32 v1, 0xff00000, v1
	s_mov_b32 s10, 0x7f00000
	v_mov_b32_e32 v5, 0x7e
	v_cmp_ne_u32_e32 vcc, s10, v1
	v_cndmask_b32_e32 v1, v5, v4, vcc
; %bb.57:
	s_andn2_saveexec_b64 s[8:9], s[8:9]
; %bb.58:
	s_mov_b32 s10, 0x46800000
	v_add_f32_e64 v1, |v0|, s10
; %bb.59:
	s_or_b64 exec, exec, s[8:9]
                                        ; implicit-def: $vgpr4
.LBB21_60:
	s_andn2_saveexec_b64 s[6:7], s[6:7]
; %bb.61:
	s_mov_b32 s8, 0x7f800000
	v_mov_b32_e32 v1, 0x7e
	v_mov_b32_e32 v5, 0x7f
	v_cmp_lt_u32_e32 vcc, s8, v4
	v_cndmask_b32_e32 v1, v1, v5, vcc
; %bb.62:
	s_or_b64 exec, exec, s[6:7]
	v_lshrrev_b32_e32 v4, 24, v0
	s_movk_i32 s6, 0x80
	v_and_or_b32 v1, v4, s6, v1
	global_store_byte v[2:3], v1, off
.LBB21_63:
	s_mov_b64 s[6:7], 0
.LBB21_64:
	s_andn2_b64 vcc, exec, s[6:7]
	s_cbranch_vccnz .LBB21_74
; %bb.65:
	v_and_b32_e32 v4, 0x7fffffff, v0
	s_mov_b32 s6, 0x47800000
	v_cmp_gt_u32_e32 vcc, s6, v4
                                        ; implicit-def: $vgpr1
	s_and_saveexec_b64 s[6:7], vcc
	s_xor_b64 s[6:7], exec, s[6:7]
	s_cbranch_execz .LBB21_71
; %bb.66:
	s_mov_b32 s8, 0x387fffff
	v_cmp_lt_u32_e32 vcc, s8, v4
                                        ; implicit-def: $vgpr1
	s_and_saveexec_b64 s[8:9], vcc
	s_xor_b64 s[8:9], exec, s[8:9]
; %bb.67:
	v_bfe_u32 v1, v0, 21, 1
	s_mov_b32 s10, 0x80fffff
	v_add3_u32 v1, v0, v1, s10
	v_lshrrev_b32_e32 v1, 21, v1
; %bb.68:
	s_andn2_saveexec_b64 s[8:9], s[8:9]
; %bb.69:
	s_mov_b32 s10, 0x43000000
	v_add_f32_e64 v1, |v0|, s10
; %bb.70:
	s_or_b64 exec, exec, s[8:9]
                                        ; implicit-def: $vgpr4
.LBB21_71:
	s_andn2_saveexec_b64 s[6:7], s[6:7]
; %bb.72:
	s_mov_b32 s8, 0x7f800000
	v_mov_b32_e32 v1, 0x7c
	v_mov_b32_e32 v5, 0x7f
	v_cmp_lt_u32_e32 vcc, s8, v4
	v_cndmask_b32_e32 v1, v1, v5, vcc
; %bb.73:
	s_or_b64 exec, exec, s[6:7]
	v_lshrrev_b32_e32 v4, 24, v0
	s_movk_i32 s6, 0x80
	v_and_or_b32 v1, v4, s6, v1
	global_store_byte v[2:3], v1, off
.LBB21_74:
	s_mov_b64 s[8:9], 0
	s_mov_b64 s[6:7], -1
.LBB21_75:
	s_andn2_b64 vcc, exec, s[8:9]
	s_cbranch_vccnz .LBB21_83
; %bb.76:
	v_mov_b32_e32 v1, 14
	v_cmp_gt_i16_sdwa s[10:11], v27, v1 src0_sel:BYTE_0 src1_sel:DWORD
	s_mov_b64 s[8:9], -1
	s_and_b64 vcc, exec, s[10:11]
	s_cbranch_vccz .LBB21_80
; %bb.77:
	v_mov_b32_e32 v1, 15
	v_cmp_eq_u16_sdwa s[8:9], v27, v1 src0_sel:BYTE_0 src1_sel:DWORD
	s_mov_b64 s[4:5], -1
	s_and_b64 vcc, exec, s[8:9]
	s_cbranch_vccz .LBB21_79
; %bb.78:
	v_bfe_u32 v1, v0, 16, 1
	s_movk_i32 s4, 0x7fff
	v_add3_u32 v1, v0, v1, s4
	v_lshrrev_b32_e32 v1, 16, v1
	v_mov_b32_e32 v4, 0x7fc0
	v_cmp_o_f32_e32 vcc, v0, v0
	v_cndmask_b32_e32 v1, v4, v1, vcc
	global_store_short v[2:3], v1, off
	s_mov_b64 s[6:7], -1
	s_mov_b64 s[4:5], 0
.LBB21_79:
	s_mov_b64 s[8:9], 0
.LBB21_80:
	s_and_b64 vcc, exec, s[8:9]
	s_cbranch_vccz .LBB21_83
; %bb.81:
	v_mov_b32_e32 v1, 11
	v_cmp_eq_u16_sdwa s[8:9], v27, v1 src0_sel:BYTE_0 src1_sel:DWORD
	s_mov_b64 s[4:5], -1
	s_and_b64 vcc, exec, s[8:9]
	s_cbranch_vccz .LBB21_83
; %bb.82:
	v_cmp_neq_f32_e32 vcc, 0, v0
	v_cndmask_b32_e64 v1, 0, 1, vcc
	s_mov_b64 s[6:7], -1
	s_mov_b64 s[4:5], 0
	global_store_byte v[2:3], v1, off
.LBB21_83:
	s_branch .LBB21_10
.LBB21_84:
	v_mov_b32_e32 v1, 5
	v_cmp_lt_i16_sdwa s[8:9], v27, v1 src0_sel:BYTE_0 src1_sel:DWORD
	s_mov_b64 s[6:7], -1
	s_and_b64 vcc, exec, s[8:9]
	s_cbranch_vccnz .LBB21_105
; %bb.85:
	v_mov_b32_e32 v1, 8
	v_cmp_lt_i16_sdwa s[8:9], v27, v1 src0_sel:BYTE_0 src1_sel:DWORD
	s_and_b64 vcc, exec, s[8:9]
	s_cbranch_vccnz .LBB21_95
; %bb.86:
	v_mov_b32_e32 v1, 9
	v_cmp_lt_i16_sdwa s[8:9], v27, v1 src0_sel:BYTE_0 src1_sel:DWORD
	s_and_b64 vcc, exec, s[8:9]
	s_cbranch_vccnz .LBB21_92
; %bb.87:
	v_cmp_gt_i16_sdwa s[8:9], v27, v1 src0_sel:BYTE_0 src1_sel:DWORD
	s_and_b64 vcc, exec, s[8:9]
	s_cbranch_vccz .LBB21_89
; %bb.88:
	v_mov_b32_e32 v6, 0
	v_cvt_f64_f32_e32 v[4:5], v0
	v_mov_b32_e32 v7, v6
	global_store_dwordx4 v[2:3], v[4:7], off
	s_mov_b64 s[6:7], 0
.LBB21_89:
	s_andn2_b64 vcc, exec, s[6:7]
	s_cbranch_vccnz .LBB21_91
; %bb.90:
	v_mov_b32_e32 v1, 0
	global_store_dwordx2 v[2:3], v[0:1], off
.LBB21_91:
	s_mov_b64 s[6:7], 0
.LBB21_92:
	s_andn2_b64 vcc, exec, s[6:7]
	s_cbranch_vccnz .LBB21_94
; %bb.93:
	v_cvt_f16_f32_e32 v1, v0
	global_store_dword v[2:3], v1, off
.LBB21_94:
	s_mov_b64 s[6:7], 0
.LBB21_95:
	s_andn2_b64 vcc, exec, s[6:7]
	s_cbranch_vccnz .LBB21_104
; %bb.96:
	v_mov_b32_e32 v1, 6
	v_cmp_lt_i16_sdwa s[8:9], v27, v1 src0_sel:BYTE_0 src1_sel:DWORD
	s_mov_b64 s[6:7], -1
	s_and_b64 vcc, exec, s[8:9]
	s_cbranch_vccnz .LBB21_102
; %bb.97:
	v_cmp_gt_i16_sdwa s[8:9], v27, v1 src0_sel:BYTE_0 src1_sel:DWORD
	s_and_b64 vcc, exec, s[8:9]
	s_cbranch_vccz .LBB21_99
; %bb.98:
	v_cvt_f64_f32_e32 v[4:5], v0
	global_store_dwordx2 v[2:3], v[4:5], off
	s_mov_b64 s[6:7], 0
.LBB21_99:
	s_andn2_b64 vcc, exec, s[6:7]
	s_cbranch_vccnz .LBB21_101
; %bb.100:
	global_store_dword v[2:3], v0, off
.LBB21_101:
	s_mov_b64 s[6:7], 0
.LBB21_102:
	s_andn2_b64 vcc, exec, s[6:7]
	s_cbranch_vccnz .LBB21_104
; %bb.103:
	v_cvt_f16_f32_e32 v1, v0
	global_store_short v[2:3], v1, off
.LBB21_104:
	s_mov_b64 s[6:7], 0
.LBB21_105:
	s_andn2_b64 vcc, exec, s[6:7]
	s_cbranch_vccnz .LBB21_121
; %bb.106:
	v_mov_b32_e32 v1, 2
	v_cmp_lt_i16_sdwa s[8:9], v27, v1 src0_sel:BYTE_0 src1_sel:DWORD
	s_mov_b64 s[6:7], -1
	s_and_b64 vcc, exec, s[8:9]
	s_cbranch_vccnz .LBB21_116
; %bb.107:
	v_mov_b32_e32 v1, 3
	v_cmp_lt_i16_sdwa s[8:9], v27, v1 src0_sel:BYTE_0 src1_sel:DWORD
	s_and_b64 vcc, exec, s[8:9]
	s_cbranch_vccnz .LBB21_113
; %bb.108:
	v_cmp_gt_i16_sdwa s[8:9], v27, v1 src0_sel:BYTE_0 src1_sel:DWORD
	s_and_b64 vcc, exec, s[8:9]
	s_cbranch_vccz .LBB21_110
; %bb.109:
	v_trunc_f32_e32 v1, v0
	s_mov_b32 s6, 0x2f800000
	v_mul_f32_e64 v4, |v1|, s6
	v_floor_f32_e32 v4, v4
	s_mov_b32 s6, 0xcf800000
	v_cvt_u32_f32_e32 v5, v4
	v_fma_f32 v4, v4, s6, |v1|
	v_cvt_u32_f32_e32 v4, v4
	v_ashrrev_i32_e32 v1, 31, v1
	v_xor_b32_e32 v5, v5, v1
	s_mov_b64 s[6:7], 0
	v_xor_b32_e32 v4, v4, v1
	v_sub_co_u32_e32 v4, vcc, v4, v1
	v_subb_co_u32_e32 v5, vcc, v5, v1, vcc
	global_store_dwordx2 v[2:3], v[4:5], off
.LBB21_110:
	s_andn2_b64 vcc, exec, s[6:7]
	s_cbranch_vccnz .LBB21_112
; %bb.111:
	v_cvt_i32_f32_e32 v1, v0
	global_store_dword v[2:3], v1, off
.LBB21_112:
	s_mov_b64 s[6:7], 0
.LBB21_113:
	s_andn2_b64 vcc, exec, s[6:7]
	s_cbranch_vccnz .LBB21_115
; %bb.114:
	v_cvt_i32_f32_e32 v1, v0
	global_store_short v[2:3], v1, off
.LBB21_115:
	s_mov_b64 s[6:7], 0
.LBB21_116:
	s_andn2_b64 vcc, exec, s[6:7]
	s_cbranch_vccnz .LBB21_121
; %bb.117:
	v_mov_b32_e32 v1, 0
	v_cmp_gt_i16_sdwa s[8:9], v27, v1 src0_sel:BYTE_0 src1_sel:DWORD
	s_mov_b64 s[6:7], -1
	s_and_b64 vcc, exec, s[8:9]
	s_cbranch_vccz .LBB21_119
; %bb.118:
	v_cvt_i32_f32_e32 v1, v0
	s_mov_b64 s[6:7], 0
	global_store_byte v[2:3], v1, off
.LBB21_119:
	s_andn2_b64 vcc, exec, s[6:7]
	s_cbranch_vccnz .LBB21_121
; %bb.120:
	v_trunc_f32_e32 v0, v0
	s_mov_b32 s6, 0x2f800000
	v_mul_f32_e64 v1, |v0|, s6
	v_floor_f32_e32 v1, v1
	s_mov_b32 s6, 0xcf800000
	v_fma_f32 v1, v1, s6, |v0|
	v_cvt_u32_f32_e32 v1, v1
	v_ashrrev_i32_e32 v0, 31, v0
	v_xor_b32_e32 v1, v1, v0
	v_sub_u32_e32 v0, v1, v0
	global_store_byte v[2:3], v0, off
.LBB21_121:
	s_branch .LBB21_11
.LBB21_122:
	s_mov_b64 s[6:7], 0
                                        ; implicit-def: $vgpr21
.LBB21_123:
	s_and_b64 s[42:43], s[4:5], exec
	s_orn2_b64 s[4:5], s[6:7], exec
.LBB21_124:
	s_or_b64 exec, exec, s[44:45]
	s_mov_b64 s[6:7], 0
                                        ; implicit-def: $vgpr4
                                        ; implicit-def: $vgpr2_vgpr3
                                        ; implicit-def: $vgpr0
	s_and_saveexec_b64 s[44:45], s[4:5]
	s_cbranch_execz .LBB21_133
; %bb.125:
	v_cmp_gt_i32_e32 vcc, s33, v21
	s_mov_b64 s[8:9], -1
	s_mov_b64 s[46:47], s[42:43]
	s_and_saveexec_b64 s[48:49], vcc
	s_cbranch_execz .LBB21_256
; %bb.126:
	v_mov_b32_e32 v0, s38
	v_mov_b32_e32 v1, s39
	;; [unrolled: 1-line block ×5, first 2 shown]
	s_getpc_b64 s[4:5]
	s_add_u32 s4, s4, _ZN2at6native6invokeIZZZNS0_12_GLOBAL__N_130modified_bessel_k0_kernel_cudaERNS_18TensorIteratorBaseEENKUlvE_clEvENKUlvE0_clEvEUlfE_i15function_traitsIS7_EEENT1_11result_typeERKT_PrKPcPKT0_PKN3c1010ScalarTypeEi@rel32@lo+4
	s_addc_u32 s5, s5, _ZN2at6native6invokeIZZZNS0_12_GLOBAL__N_130modified_bessel_k0_kernel_cudaERNS_18TensorIteratorBaseEENKUlvE_clEvENKUlvE0_clEvEUlfE_i15function_traitsIS7_EEENT1_11result_typeERKT_PrKPcPKT0_PKN3c1010ScalarTypeEi@rel32@hi+12
	s_swappc_b64 s[30:31], s[4:5]
	v_mul_lo_u32 v1, v21, s28
	v_ashrrev_i32_e32 v3, 31, v1
	v_mov_b32_e32 v4, s37
	v_add_co_u32_e32 v2, vcc, s36, v1
	v_mov_b32_e32 v1, 11
	v_addc_co_u32_e32 v3, vcc, v4, v3, vcc
	v_cmp_lt_i16_sdwa s[4:5], v27, v1 src0_sel:BYTE_0 src1_sel:DWORD
	s_and_b64 vcc, exec, s[4:5]
	s_cbranch_vccnz .LBB21_136
; %bb.127:
	v_mov_b32_e32 v1, 25
	v_cmp_gt_i16_sdwa s[4:5], v27, v1 src0_sel:BYTE_0 src1_sel:DWORD
	s_and_b64 vcc, exec, s[4:5]
	s_cbranch_vccz .LBB21_139
; %bb.128:
	v_mov_b32_e32 v1, 28
	v_cmp_gt_i16_sdwa s[4:5], v27, v1 src0_sel:BYTE_0 src1_sel:DWORD
	s_and_b64 vcc, exec, s[4:5]
	s_cbranch_vccz .LBB21_140
	;; [unrolled: 5-line block ×4, first 2 shown]
; %bb.131:
	v_mov_b32_e32 v1, 46
	v_cmp_eq_u16_sdwa s[6:7], v27, v1 src0_sel:BYTE_0 src1_sel:DWORD
	s_mov_b64 s[8:9], 0
	s_mov_b64 s[4:5], -1
	s_and_b64 vcc, exec, s[6:7]
	s_mov_b64 s[6:7], 0
	s_cbranch_vccz .LBB21_147
; %bb.132:
	v_bfe_u32 v1, v0, 16, 1
	s_movk_i32 s4, 0x7fff
	v_add3_u32 v1, v0, v1, s4
	v_lshrrev_b32_e32 v1, 16, v1
	v_mov_b32_e32 v4, 0x7fc0
	v_cmp_o_f32_e32 vcc, v0, v0
	v_cndmask_b32_e32 v1, v4, v1, vcc
	global_store_dword v[2:3], v1, off
	s_mov_b64 s[6:7], -1
	s_mov_b64 s[4:5], 0
	s_branch .LBB21_147
.LBB21_133:
	s_or_b64 exec, exec, s[44:45]
	s_mov_b64 s[4:5], 0
	s_and_saveexec_b64 s[8:9], s[42:43]
	s_cbranch_execnz .LBB21_468
.LBB21_134:
	s_or_b64 exec, exec, s[8:9]
	s_and_saveexec_b64 s[8:9], s[48:49]
	s_xor_b64 s[8:9], exec, s[8:9]
	s_cbranch_execz .LBB21_469
.LBB21_135:
	v_cmp_neq_f32_e32 vcc, 0, v0
	v_cndmask_b32_e64 v1, 0, 1, vcc
	global_store_byte v[2:3], v1, off
	s_or_b64 exec, exec, s[8:9]
	s_and_saveexec_b64 s[8:9], s[6:7]
	s_xor_b64 s[6:7], exec, s[8:9]
	s_cbranch_execz .LBB21_507
	s_branch .LBB21_470
.LBB21_136:
	s_mov_b64 s[6:7], 0
	s_mov_b64 s[4:5], s[42:43]
	s_cbranch_execnz .LBB21_216
.LBB21_137:
	s_andn2_b64 vcc, exec, s[6:7]
	s_cbranch_vccnz .LBB21_254
.LBB21_138:
	v_add_u32_e32 v21, 0x80, v21
	s_mov_b64 s[6:7], -1
	s_branch .LBB21_255
.LBB21_139:
	s_mov_b64 s[8:9], -1
	s_mov_b64 s[6:7], 0
	s_mov_b64 s[4:5], s[42:43]
	s_branch .LBB21_174
.LBB21_140:
	s_mov_b64 s[8:9], -1
	s_mov_b64 s[6:7], 0
	s_mov_b64 s[4:5], s[42:43]
	s_branch .LBB21_157
.LBB21_141:
	s_or_saveexec_b64 s[10:11], s[10:11]
                                        ; implicit-def: $sgpr12
	s_xor_b64 exec, exec, s[10:11]
	s_cbranch_execz .LBB21_37
.LBB21_142:
	s_mov_b32 s12, 0x46000000
	v_add_f32_e64 v1, |v0|, s12
	v_and_b32_e32 v1, 0xff, v1
	v_cmp_ne_u32_e32 vcc, 0, v1
	s_andn2_b64 s[8:9], s[8:9], exec
	s_and_b64 s[14:15], vcc, exec
	s_mov_b32 s12, 0
	s_or_b64 s[8:9], s[8:9], s[14:15]
	s_or_b64 exec, exec, s[10:11]
	v_mov_b32_e32 v4, s12
	s_and_saveexec_b64 s[10:11], s[8:9]
	s_cbranch_execnz .LBB21_38
	s_branch .LBB21_39
.LBB21_143:
	s_mov_b64 s[8:9], -1
	s_mov_b64 s[6:7], 0
	s_mov_b64 s[4:5], s[42:43]
	s_branch .LBB21_153
.LBB21_144:
	s_or_saveexec_b64 s[10:11], s[10:11]
                                        ; implicit-def: $sgpr12
	s_xor_b64 exec, exec, s[10:11]
	s_cbranch_execz .LBB21_49
.LBB21_145:
	s_mov_b32 s12, 0x42800000
	v_add_f32_e64 v1, |v0|, s12
	v_and_b32_e32 v1, 0xff, v1
	v_cmp_ne_u32_e32 vcc, 0, v1
	s_andn2_b64 s[8:9], s[8:9], exec
	s_and_b64 s[14:15], vcc, exec
	s_mov_b32 s12, 0
	s_or_b64 s[8:9], s[8:9], s[14:15]
	s_or_b64 exec, exec, s[10:11]
	v_mov_b32_e32 v4, s12
	s_and_saveexec_b64 s[10:11], s[8:9]
	s_cbranch_execnz .LBB21_50
	s_branch .LBB21_51
.LBB21_146:
	s_mov_b64 s[8:9], -1
	s_mov_b64 s[6:7], 0
	s_mov_b64 s[4:5], s[42:43]
.LBB21_147:
	s_and_b64 vcc, exec, s[8:9]
	s_cbranch_vccz .LBB21_152
; %bb.148:
	v_mov_b32_e32 v1, 44
	v_cmp_eq_u16_sdwa s[8:9], v27, v1 src0_sel:BYTE_0 src1_sel:DWORD
	s_mov_b64 s[4:5], -1
	s_and_b64 vcc, exec, s[8:9]
	s_cbranch_vccz .LBB21_152
; %bb.149:
	v_bfe_u32 v1, v0, 23, 8
	s_movk_i32 s4, 0xff
	v_cmp_ne_u32_e32 vcc, s4, v1
	v_mov_b32_e32 v4, 0xff
	s_and_saveexec_b64 s[6:7], vcc
; %bb.150:
	s_mov_b32 s4, 0x3fffff
	v_and_b32_e32 v5, 0x400000, v0
	v_and_or_b32 v1, v0, s4, v1
	v_cmp_ne_u32_e32 vcc, 0, v5
	v_cmp_ne_u32_e64 s[4:5], 0, v1
	s_and_b64 s[4:5], vcc, s[4:5]
	v_lshrrev_b32_e32 v4, 23, v0
	v_cndmask_b32_e64 v1, 0, 1, s[4:5]
	v_add_u32_e32 v4, v4, v1
; %bb.151:
	s_or_b64 exec, exec, s[6:7]
	s_mov_b64 s[6:7], -1
	s_mov_b64 s[4:5], 0
	global_store_byte v[2:3], v4, off
.LBB21_152:
	s_mov_b64 s[8:9], 0
.LBB21_153:
	s_and_b64 vcc, exec, s[8:9]
	s_cbranch_vccz .LBB21_156
; %bb.154:
	v_mov_b32_e32 v1, 29
	v_cmp_eq_u16_sdwa s[8:9], v27, v1 src0_sel:BYTE_0 src1_sel:DWORD
	s_mov_b64 s[4:5], -1
	s_and_b64 vcc, exec, s[8:9]
	s_cbranch_vccz .LBB21_156
; %bb.155:
	v_trunc_f32_e32 v1, v0
	v_mul_f32_e32 v4, 0x2f800000, v1
	v_floor_f32_e32 v4, v4
	v_fmac_f32_e32 v1, 0xcf800000, v4
	v_cvt_u32_f32_e32 v5, v4
	v_cvt_u32_f32_e32 v4, v1
	s_mov_b64 s[6:7], -1
	s_mov_b64 s[4:5], 0
	s_mov_b64 s[8:9], 0
	global_store_dwordx2 v[2:3], v[4:5], off
	s_branch .LBB21_157
.LBB21_156:
	s_mov_b64 s[8:9], 0
.LBB21_157:
	s_and_b64 vcc, exec, s[8:9]
	s_cbranch_vccz .LBB21_173
; %bb.158:
	v_mov_b32_e32 v1, 27
	v_cmp_lt_i16_sdwa s[8:9], v27, v1 src0_sel:BYTE_0 src1_sel:DWORD
	s_mov_b64 s[6:7], -1
	s_and_b64 vcc, exec, s[8:9]
	s_cbranch_vccnz .LBB21_164
; %bb.159:
	v_cmp_gt_i16_sdwa s[8:9], v27, v1 src0_sel:BYTE_0 src1_sel:DWORD
	v_cvt_u32_f32_e32 v1, v0
	s_and_b64 vcc, exec, s[8:9]
	s_cbranch_vccz .LBB21_161
; %bb.160:
	s_mov_b64 s[6:7], 0
	global_store_dword v[2:3], v1, off
.LBB21_161:
	s_andn2_b64 vcc, exec, s[6:7]
	s_cbranch_vccnz .LBB21_163
; %bb.162:
	global_store_short v[2:3], v1, off
.LBB21_163:
	s_mov_b64 s[6:7], 0
.LBB21_164:
	s_andn2_b64 vcc, exec, s[6:7]
	s_cbranch_vccnz .LBB21_172
; %bb.165:
	v_and_b32_e32 v1, 0x7fffffff, v0
	s_mov_b32 s6, 0x43800000
	v_cmp_gt_u32_e32 vcc, s6, v1
	v_mov_b32_e32 v4, 0x80
	s_and_saveexec_b64 s[6:7], vcc
	s_cbranch_execz .LBB21_171
; %bb.166:
	s_mov_b32 s8, 0x3bffffff
	v_cmp_lt_u32_e32 vcc, s8, v1
	s_mov_b64 s[8:9], 0
                                        ; implicit-def: $vgpr1
	s_and_saveexec_b64 s[10:11], vcc
	s_xor_b64 s[10:11], exec, s[10:11]
	s_cbranch_execz .LBB21_268
; %bb.167:
	v_bfe_u32 v1, v0, 20, 1
	s_mov_b32 s12, 0x487ffff
	v_add3_u32 v1, v0, v1, s12
	s_mov_b64 s[8:9], exec
	v_lshrrev_b32_e32 v1, 20, v1
	s_or_saveexec_b64 s[10:11], s[10:11]
                                        ; implicit-def: $sgpr12
	s_xor_b64 exec, exec, s[10:11]
	s_cbranch_execnz .LBB21_269
.LBB21_168:
	s_or_b64 exec, exec, s[10:11]
	v_mov_b32_e32 v4, s12
	s_and_saveexec_b64 s[10:11], s[8:9]
.LBB21_169:
	v_lshrrev_b32_e32 v4, 24, v0
	s_movk_i32 s8, 0x80
	v_and_or_b32 v4, v4, s8, v1
.LBB21_170:
	s_or_b64 exec, exec, s[10:11]
.LBB21_171:
	s_or_b64 exec, exec, s[6:7]
	global_store_byte v[2:3], v4, off
.LBB21_172:
	s_mov_b64 s[6:7], -1
.LBB21_173:
	s_mov_b64 s[8:9], 0
.LBB21_174:
	s_and_b64 vcc, exec, s[8:9]
	s_cbranch_vccz .LBB21_215
; %bb.175:
	v_mov_b32_e32 v1, 22
	v_cmp_gt_i16_sdwa s[10:11], v27, v1 src0_sel:BYTE_0 src1_sel:DWORD
	s_mov_b64 s[8:9], -1
	s_and_b64 vcc, exec, s[10:11]
	s_cbranch_vccz .LBB21_207
; %bb.176:
	v_mov_b32_e32 v1, 24
	v_cmp_lt_i16_sdwa s[8:9], v27, v1 src0_sel:BYTE_0 src1_sel:DWORD
	s_mov_b64 s[6:7], -1
	s_and_b64 vcc, exec, s[8:9]
	s_cbranch_vccnz .LBB21_196
; %bb.177:
	v_cmp_gt_i16_sdwa s[8:9], v27, v1 src0_sel:BYTE_0 src1_sel:DWORD
	s_and_b64 vcc, exec, s[8:9]
	s_cbranch_vccz .LBB21_185
; %bb.178:
	v_and_b32_e32 v1, 0x7fffffff, v0
	s_mov_b32 s6, 0x47800000
	v_cmp_gt_u32_e32 vcc, s6, v1
	v_mov_b32_e32 v4, 0x80
	s_and_saveexec_b64 s[6:7], vcc
	s_cbranch_execz .LBB21_184
; %bb.179:
	s_mov_b32 s8, 0x37ffffff
	v_cmp_lt_u32_e32 vcc, s8, v1
	s_mov_b64 s[8:9], 0
                                        ; implicit-def: $vgpr1
	s_and_saveexec_b64 s[10:11], vcc
	s_xor_b64 s[10:11], exec, s[10:11]
	s_cbranch_execz .LBB21_271
; %bb.180:
	v_bfe_u32 v1, v0, 21, 1
	s_mov_b32 s12, 0x88fffff
	v_add3_u32 v1, v0, v1, s12
	s_mov_b64 s[8:9], exec
	v_lshrrev_b32_e32 v1, 21, v1
	s_or_saveexec_b64 s[10:11], s[10:11]
                                        ; implicit-def: $sgpr12
	s_xor_b64 exec, exec, s[10:11]
	s_cbranch_execnz .LBB21_272
.LBB21_181:
	s_or_b64 exec, exec, s[10:11]
	v_mov_b32_e32 v4, s12
	s_and_saveexec_b64 s[10:11], s[8:9]
.LBB21_182:
	v_lshrrev_b32_e32 v4, 24, v0
	s_movk_i32 s8, 0x80
	v_and_or_b32 v4, v4, s8, v1
.LBB21_183:
	s_or_b64 exec, exec, s[10:11]
.LBB21_184:
	s_or_b64 exec, exec, s[6:7]
	s_mov_b64 s[6:7], 0
	global_store_byte v[2:3], v4, off
.LBB21_185:
	s_and_b64 vcc, exec, s[6:7]
	s_cbranch_vccz .LBB21_195
; %bb.186:
	v_and_b32_e32 v4, 0x7fffffff, v0
	s_mov_b32 s6, 0x43f00000
	v_cmp_gt_u32_e32 vcc, s6, v4
                                        ; implicit-def: $vgpr1
	s_and_saveexec_b64 s[6:7], vcc
	s_xor_b64 s[6:7], exec, s[6:7]
	s_cbranch_execz .LBB21_192
; %bb.187:
	s_mov_b32 s8, 0x3c7fffff
	v_cmp_lt_u32_e32 vcc, s8, v4
                                        ; implicit-def: $vgpr1
	s_and_saveexec_b64 s[8:9], vcc
	s_xor_b64 s[8:9], exec, s[8:9]
; %bb.188:
	v_bfe_u32 v1, v0, 20, 1
	s_mov_b32 s10, 0x407ffff
	v_add3_u32 v1, v0, v1, s10
	v_lshrrev_b32_e32 v4, 20, v1
	v_and_b32_e32 v1, 0xff00000, v1
	s_mov_b32 s10, 0x7f00000
	v_mov_b32_e32 v5, 0x7e
	v_cmp_ne_u32_e32 vcc, s10, v1
	v_cndmask_b32_e32 v1, v5, v4, vcc
; %bb.189:
	s_andn2_saveexec_b64 s[8:9], s[8:9]
; %bb.190:
	s_mov_b32 s10, 0x46800000
	v_add_f32_e64 v1, |v0|, s10
; %bb.191:
	s_or_b64 exec, exec, s[8:9]
                                        ; implicit-def: $vgpr4
.LBB21_192:
	s_andn2_saveexec_b64 s[6:7], s[6:7]
; %bb.193:
	s_mov_b32 s8, 0x7f800000
	v_mov_b32_e32 v1, 0x7e
	v_mov_b32_e32 v5, 0x7f
	v_cmp_lt_u32_e32 vcc, s8, v4
	v_cndmask_b32_e32 v1, v1, v5, vcc
; %bb.194:
	s_or_b64 exec, exec, s[6:7]
	v_lshrrev_b32_e32 v4, 24, v0
	s_movk_i32 s6, 0x80
	v_and_or_b32 v1, v4, s6, v1
	global_store_byte v[2:3], v1, off
.LBB21_195:
	s_mov_b64 s[6:7], 0
.LBB21_196:
	s_andn2_b64 vcc, exec, s[6:7]
	s_cbranch_vccnz .LBB21_206
; %bb.197:
	v_and_b32_e32 v4, 0x7fffffff, v0
	s_mov_b32 s6, 0x47800000
	v_cmp_gt_u32_e32 vcc, s6, v4
                                        ; implicit-def: $vgpr1
	s_and_saveexec_b64 s[6:7], vcc
	s_xor_b64 s[6:7], exec, s[6:7]
	s_cbranch_execz .LBB21_203
; %bb.198:
	s_mov_b32 s8, 0x387fffff
	v_cmp_lt_u32_e32 vcc, s8, v4
                                        ; implicit-def: $vgpr1
	s_and_saveexec_b64 s[8:9], vcc
	s_xor_b64 s[8:9], exec, s[8:9]
; %bb.199:
	v_bfe_u32 v1, v0, 21, 1
	s_mov_b32 s10, 0x80fffff
	v_add3_u32 v1, v0, v1, s10
	v_lshrrev_b32_e32 v1, 21, v1
; %bb.200:
	s_andn2_saveexec_b64 s[8:9], s[8:9]
; %bb.201:
	s_mov_b32 s10, 0x43000000
	v_add_f32_e64 v1, |v0|, s10
; %bb.202:
	s_or_b64 exec, exec, s[8:9]
                                        ; implicit-def: $vgpr4
.LBB21_203:
	s_andn2_saveexec_b64 s[6:7], s[6:7]
; %bb.204:
	s_mov_b32 s8, 0x7f800000
	v_mov_b32_e32 v1, 0x7c
	v_mov_b32_e32 v5, 0x7f
	v_cmp_lt_u32_e32 vcc, s8, v4
	v_cndmask_b32_e32 v1, v1, v5, vcc
; %bb.205:
	s_or_b64 exec, exec, s[6:7]
	v_lshrrev_b32_e32 v4, 24, v0
	s_movk_i32 s6, 0x80
	v_and_or_b32 v1, v4, s6, v1
	global_store_byte v[2:3], v1, off
.LBB21_206:
	s_mov_b64 s[8:9], 0
	s_mov_b64 s[6:7], -1
.LBB21_207:
	s_andn2_b64 vcc, exec, s[8:9]
	s_cbranch_vccnz .LBB21_215
; %bb.208:
	v_mov_b32_e32 v1, 14
	v_cmp_gt_i16_sdwa s[10:11], v27, v1 src0_sel:BYTE_0 src1_sel:DWORD
	s_mov_b64 s[8:9], -1
	s_and_b64 vcc, exec, s[10:11]
	s_cbranch_vccz .LBB21_212
; %bb.209:
	v_mov_b32_e32 v1, 15
	v_cmp_eq_u16_sdwa s[8:9], v27, v1 src0_sel:BYTE_0 src1_sel:DWORD
	s_mov_b64 s[4:5], -1
	s_and_b64 vcc, exec, s[8:9]
	s_cbranch_vccz .LBB21_211
; %bb.210:
	v_bfe_u32 v1, v0, 16, 1
	s_movk_i32 s4, 0x7fff
	v_add3_u32 v1, v0, v1, s4
	v_lshrrev_b32_e32 v1, 16, v1
	v_mov_b32_e32 v4, 0x7fc0
	v_cmp_o_f32_e32 vcc, v0, v0
	v_cndmask_b32_e32 v1, v4, v1, vcc
	global_store_short v[2:3], v1, off
	s_mov_b64 s[6:7], -1
	s_mov_b64 s[4:5], 0
.LBB21_211:
	s_mov_b64 s[8:9], 0
.LBB21_212:
	s_and_b64 vcc, exec, s[8:9]
	s_cbranch_vccz .LBB21_215
; %bb.213:
	v_mov_b32_e32 v1, 11
	v_cmp_eq_u16_sdwa s[8:9], v27, v1 src0_sel:BYTE_0 src1_sel:DWORD
	s_mov_b64 s[4:5], -1
	s_and_b64 vcc, exec, s[8:9]
	s_cbranch_vccz .LBB21_215
; %bb.214:
	v_cmp_neq_f32_e32 vcc, 0, v0
	v_cndmask_b32_e64 v1, 0, 1, vcc
	s_mov_b64 s[6:7], -1
	s_mov_b64 s[4:5], 0
	global_store_byte v[2:3], v1, off
.LBB21_215:
	s_branch .LBB21_137
.LBB21_216:
	v_mov_b32_e32 v1, 5
	v_cmp_lt_i16_sdwa s[8:9], v27, v1 src0_sel:BYTE_0 src1_sel:DWORD
	s_mov_b64 s[6:7], -1
	s_and_b64 vcc, exec, s[8:9]
	s_cbranch_vccnz .LBB21_237
; %bb.217:
	v_mov_b32_e32 v1, 8
	v_cmp_lt_i16_sdwa s[8:9], v27, v1 src0_sel:BYTE_0 src1_sel:DWORD
	s_and_b64 vcc, exec, s[8:9]
	s_cbranch_vccnz .LBB21_227
; %bb.218:
	v_mov_b32_e32 v1, 9
	v_cmp_lt_i16_sdwa s[8:9], v27, v1 src0_sel:BYTE_0 src1_sel:DWORD
	s_and_b64 vcc, exec, s[8:9]
	s_cbranch_vccnz .LBB21_224
; %bb.219:
	v_cmp_gt_i16_sdwa s[8:9], v27, v1 src0_sel:BYTE_0 src1_sel:DWORD
	s_and_b64 vcc, exec, s[8:9]
	s_cbranch_vccz .LBB21_221
; %bb.220:
	v_mov_b32_e32 v6, 0
	v_cvt_f64_f32_e32 v[4:5], v0
	v_mov_b32_e32 v7, v6
	s_mov_b64 s[6:7], 0
	global_store_dwordx4 v[2:3], v[4:7], off
.LBB21_221:
	s_andn2_b64 vcc, exec, s[6:7]
	s_cbranch_vccnz .LBB21_223
; %bb.222:
	v_mov_b32_e32 v1, 0
	global_store_dwordx2 v[2:3], v[0:1], off
.LBB21_223:
	s_mov_b64 s[6:7], 0
.LBB21_224:
	s_andn2_b64 vcc, exec, s[6:7]
	s_cbranch_vccnz .LBB21_226
; %bb.225:
	v_cvt_f16_f32_e32 v1, v0
	global_store_dword v[2:3], v1, off
.LBB21_226:
	s_mov_b64 s[6:7], 0
.LBB21_227:
	s_andn2_b64 vcc, exec, s[6:7]
	s_cbranch_vccnz .LBB21_236
; %bb.228:
	v_mov_b32_e32 v1, 6
	v_cmp_lt_i16_sdwa s[8:9], v27, v1 src0_sel:BYTE_0 src1_sel:DWORD
	s_mov_b64 s[6:7], -1
	s_and_b64 vcc, exec, s[8:9]
	s_cbranch_vccnz .LBB21_234
; %bb.229:
	v_cmp_gt_i16_sdwa s[8:9], v27, v1 src0_sel:BYTE_0 src1_sel:DWORD
	s_and_b64 vcc, exec, s[8:9]
	s_cbranch_vccz .LBB21_231
; %bb.230:
	v_cvt_f64_f32_e32 v[4:5], v0
	s_mov_b64 s[6:7], 0
	global_store_dwordx2 v[2:3], v[4:5], off
.LBB21_231:
	s_andn2_b64 vcc, exec, s[6:7]
	s_cbranch_vccnz .LBB21_233
; %bb.232:
	global_store_dword v[2:3], v0, off
.LBB21_233:
	s_mov_b64 s[6:7], 0
.LBB21_234:
	s_andn2_b64 vcc, exec, s[6:7]
	s_cbranch_vccnz .LBB21_236
; %bb.235:
	v_cvt_f16_f32_e32 v1, v0
	global_store_short v[2:3], v1, off
.LBB21_236:
	s_mov_b64 s[6:7], 0
.LBB21_237:
	s_andn2_b64 vcc, exec, s[6:7]
	s_cbranch_vccnz .LBB21_253
; %bb.238:
	v_mov_b32_e32 v1, 2
	v_cmp_lt_i16_sdwa s[8:9], v27, v1 src0_sel:BYTE_0 src1_sel:DWORD
	s_mov_b64 s[6:7], -1
	s_and_b64 vcc, exec, s[8:9]
	s_cbranch_vccnz .LBB21_248
; %bb.239:
	v_mov_b32_e32 v1, 3
	v_cmp_lt_i16_sdwa s[8:9], v27, v1 src0_sel:BYTE_0 src1_sel:DWORD
	s_and_b64 vcc, exec, s[8:9]
	s_cbranch_vccnz .LBB21_245
; %bb.240:
	v_cmp_gt_i16_sdwa s[8:9], v27, v1 src0_sel:BYTE_0 src1_sel:DWORD
	s_and_b64 vcc, exec, s[8:9]
	s_cbranch_vccz .LBB21_242
; %bb.241:
	v_trunc_f32_e32 v1, v0
	s_mov_b32 s6, 0x2f800000
	v_mul_f32_e64 v4, |v1|, s6
	v_floor_f32_e32 v4, v4
	s_mov_b32 s6, 0xcf800000
	v_cvt_u32_f32_e32 v5, v4
	v_fma_f32 v4, v4, s6, |v1|
	v_cvt_u32_f32_e32 v4, v4
	v_ashrrev_i32_e32 v1, 31, v1
	v_xor_b32_e32 v5, v5, v1
	s_mov_b64 s[6:7], 0
	v_xor_b32_e32 v4, v4, v1
	v_sub_co_u32_e32 v4, vcc, v4, v1
	v_subb_co_u32_e32 v5, vcc, v5, v1, vcc
	global_store_dwordx2 v[2:3], v[4:5], off
.LBB21_242:
	s_andn2_b64 vcc, exec, s[6:7]
	s_cbranch_vccnz .LBB21_244
; %bb.243:
	v_cvt_i32_f32_e32 v1, v0
	global_store_dword v[2:3], v1, off
.LBB21_244:
	s_mov_b64 s[6:7], 0
.LBB21_245:
	s_andn2_b64 vcc, exec, s[6:7]
	s_cbranch_vccnz .LBB21_247
; %bb.246:
	v_cvt_i32_f32_e32 v1, v0
	global_store_short v[2:3], v1, off
.LBB21_247:
	s_mov_b64 s[6:7], 0
.LBB21_248:
	s_andn2_b64 vcc, exec, s[6:7]
	s_cbranch_vccnz .LBB21_253
; %bb.249:
	v_mov_b32_e32 v1, 0
	v_cmp_gt_i16_sdwa s[8:9], v27, v1 src0_sel:BYTE_0 src1_sel:DWORD
	s_mov_b64 s[6:7], -1
	s_and_b64 vcc, exec, s[8:9]
	s_cbranch_vccz .LBB21_251
; %bb.250:
	v_cvt_i32_f32_e32 v1, v0
	s_mov_b64 s[6:7], 0
	global_store_byte v[2:3], v1, off
.LBB21_251:
	s_andn2_b64 vcc, exec, s[6:7]
	s_cbranch_vccnz .LBB21_253
; %bb.252:
	v_trunc_f32_e32 v0, v0
	s_mov_b32 s6, 0x2f800000
	v_mul_f32_e64 v1, |v0|, s6
	v_floor_f32_e32 v1, v1
	s_mov_b32 s6, 0xcf800000
	v_fma_f32 v1, v1, s6, |v0|
	v_cvt_u32_f32_e32 v1, v1
	v_ashrrev_i32_e32 v0, 31, v0
	v_xor_b32_e32 v1, v1, v0
	v_sub_u32_e32 v0, v1, v0
	global_store_byte v[2:3], v0, off
.LBB21_253:
	s_branch .LBB21_138
.LBB21_254:
	s_mov_b64 s[6:7], 0
                                        ; implicit-def: $vgpr21
.LBB21_255:
	s_andn2_b64 s[8:9], s[42:43], exec
	s_and_b64 s[4:5], s[4:5], exec
	s_or_b64 s[46:47], s[8:9], s[4:5]
	s_orn2_b64 s[8:9], s[6:7], exec
.LBB21_256:
	s_or_b64 exec, exec, s[48:49]
	s_mov_b64 s[4:5], 0
	s_mov_b64 s[6:7], 0
                                        ; implicit-def: $vgpr4
                                        ; implicit-def: $vgpr2_vgpr3
                                        ; implicit-def: $vgpr0
	s_and_saveexec_b64 s[48:49], s[8:9]
	s_cbranch_execz .LBB21_467
; %bb.257:
	v_cmp_gt_i32_e32 vcc, s33, v21
	s_mov_b64 s[6:7], -1
	s_mov_b64 s[52:53], s[46:47]
	s_and_saveexec_b64 s[50:51], vcc
	s_cbranch_execz .LBB21_386
; %bb.258:
	v_mov_b32_e32 v0, s38
	v_mov_b32_e32 v1, s39
	;; [unrolled: 1-line block ×5, first 2 shown]
	s_getpc_b64 s[4:5]
	s_add_u32 s4, s4, _ZN2at6native6invokeIZZZNS0_12_GLOBAL__N_130modified_bessel_k0_kernel_cudaERNS_18TensorIteratorBaseEENKUlvE_clEvENKUlvE0_clEvEUlfE_i15function_traitsIS7_EEENT1_11result_typeERKT_PrKPcPKT0_PKN3c1010ScalarTypeEi@rel32@lo+4
	s_addc_u32 s5, s5, _ZN2at6native6invokeIZZZNS0_12_GLOBAL__N_130modified_bessel_k0_kernel_cudaERNS_18TensorIteratorBaseEENKUlvE_clEvENKUlvE0_clEvEUlfE_i15function_traitsIS7_EEENT1_11result_typeERKT_PrKPcPKT0_PKN3c1010ScalarTypeEi@rel32@hi+12
	s_swappc_b64 s[30:31], s[4:5]
	v_mul_lo_u32 v1, v21, s28
	v_ashrrev_i32_e32 v3, 31, v1
	v_mov_b32_e32 v4, s37
	v_add_co_u32_e32 v2, vcc, s36, v1
	v_mov_b32_e32 v1, 11
	v_addc_co_u32_e32 v3, vcc, v4, v3, vcc
	v_cmp_lt_i16_sdwa s[4:5], v27, v1 src0_sel:BYTE_0 src1_sel:DWORD
	s_and_b64 vcc, exec, s[4:5]
	s_cbranch_vccnz .LBB21_265
; %bb.259:
	v_mov_b32_e32 v1, 25
	v_cmp_gt_i16_sdwa s[4:5], v27, v1 src0_sel:BYTE_0 src1_sel:DWORD
	s_and_b64 vcc, exec, s[4:5]
	s_cbranch_vccz .LBB21_266
; %bb.260:
	v_mov_b32_e32 v1, 28
	v_cmp_gt_i16_sdwa s[4:5], v27, v1 src0_sel:BYTE_0 src1_sel:DWORD
	s_and_b64 vcc, exec, s[4:5]
	s_cbranch_vccz .LBB21_267
	;; [unrolled: 5-line block ×4, first 2 shown]
; %bb.263:
	v_mov_b32_e32 v1, 46
	v_cmp_eq_u16_sdwa s[6:7], v27, v1 src0_sel:BYTE_0 src1_sel:DWORD
	s_mov_b64 s[8:9], 0
	s_mov_b64 s[4:5], -1
	s_and_b64 vcc, exec, s[6:7]
	s_mov_b64 s[6:7], 0
	s_cbranch_vccz .LBB21_274
; %bb.264:
	v_bfe_u32 v1, v0, 16, 1
	s_movk_i32 s4, 0x7fff
	v_add3_u32 v1, v0, v1, s4
	v_lshrrev_b32_e32 v1, 16, v1
	v_mov_b32_e32 v4, 0x7fc0
	v_cmp_o_f32_e32 vcc, v0, v0
	v_cndmask_b32_e32 v1, v4, v1, vcc
	global_store_dword v[2:3], v1, off
	s_mov_b64 s[6:7], -1
	s_mov_b64 s[4:5], 0
	s_branch .LBB21_274
.LBB21_265:
	s_mov_b64 s[8:9], -1
	s_mov_b64 s[6:7], 0
	s_mov_b64 s[4:5], s[46:47]
	s_branch .LBB21_343
.LBB21_266:
	s_mov_b64 s[8:9], -1
	s_mov_b64 s[6:7], 0
	s_mov_b64 s[4:5], s[46:47]
	s_branch .LBB21_301
.LBB21_267:
	s_mov_b64 s[8:9], -1
	s_mov_b64 s[6:7], 0
	s_mov_b64 s[4:5], s[46:47]
	s_branch .LBB21_284
.LBB21_268:
	s_or_saveexec_b64 s[10:11], s[10:11]
                                        ; implicit-def: $sgpr12
	s_xor_b64 exec, exec, s[10:11]
	s_cbranch_execz .LBB21_168
.LBB21_269:
	s_mov_b32 s12, 0x46000000
	v_add_f32_e64 v1, |v0|, s12
	v_and_b32_e32 v1, 0xff, v1
	v_cmp_ne_u32_e32 vcc, 0, v1
	s_andn2_b64 s[8:9], s[8:9], exec
	s_and_b64 s[14:15], vcc, exec
	s_mov_b32 s12, 0
	s_or_b64 s[8:9], s[8:9], s[14:15]
	s_or_b64 exec, exec, s[10:11]
	v_mov_b32_e32 v4, s12
	s_and_saveexec_b64 s[10:11], s[8:9]
	s_cbranch_execnz .LBB21_169
	s_branch .LBB21_170
.LBB21_270:
	s_mov_b64 s[8:9], -1
	s_mov_b64 s[6:7], 0
	s_mov_b64 s[4:5], s[46:47]
	s_branch .LBB21_280
.LBB21_271:
	s_or_saveexec_b64 s[10:11], s[10:11]
                                        ; implicit-def: $sgpr12
	s_xor_b64 exec, exec, s[10:11]
	s_cbranch_execz .LBB21_181
.LBB21_272:
	s_mov_b32 s12, 0x42800000
	v_add_f32_e64 v1, |v0|, s12
	v_and_b32_e32 v1, 0xff, v1
	v_cmp_ne_u32_e32 vcc, 0, v1
	s_andn2_b64 s[8:9], s[8:9], exec
	s_and_b64 s[14:15], vcc, exec
	s_mov_b32 s12, 0
	s_or_b64 s[8:9], s[8:9], s[14:15]
	s_or_b64 exec, exec, s[10:11]
	v_mov_b32_e32 v4, s12
	s_and_saveexec_b64 s[10:11], s[8:9]
	s_cbranch_execnz .LBB21_182
	s_branch .LBB21_183
.LBB21_273:
	s_mov_b64 s[8:9], -1
	s_mov_b64 s[6:7], 0
	s_mov_b64 s[4:5], s[46:47]
.LBB21_274:
	s_and_b64 vcc, exec, s[8:9]
	s_cbranch_vccz .LBB21_279
; %bb.275:
	v_mov_b32_e32 v1, 44
	v_cmp_eq_u16_sdwa s[8:9], v27, v1 src0_sel:BYTE_0 src1_sel:DWORD
	s_mov_b64 s[4:5], -1
	s_and_b64 vcc, exec, s[8:9]
	s_cbranch_vccz .LBB21_279
; %bb.276:
	v_bfe_u32 v1, v0, 23, 8
	s_movk_i32 s4, 0xff
	v_cmp_ne_u32_e32 vcc, s4, v1
	v_mov_b32_e32 v4, 0xff
	s_and_saveexec_b64 s[6:7], vcc
; %bb.277:
	s_mov_b32 s4, 0x3fffff
	v_and_b32_e32 v5, 0x400000, v0
	v_and_or_b32 v1, v0, s4, v1
	v_cmp_ne_u32_e32 vcc, 0, v5
	v_cmp_ne_u32_e64 s[4:5], 0, v1
	s_and_b64 s[4:5], vcc, s[4:5]
	v_lshrrev_b32_e32 v4, 23, v0
	v_cndmask_b32_e64 v1, 0, 1, s[4:5]
	v_add_u32_e32 v4, v4, v1
; %bb.278:
	s_or_b64 exec, exec, s[6:7]
	s_mov_b64 s[6:7], -1
	s_mov_b64 s[4:5], 0
	global_store_byte v[2:3], v4, off
.LBB21_279:
	s_mov_b64 s[8:9], 0
.LBB21_280:
	s_and_b64 vcc, exec, s[8:9]
	s_cbranch_vccz .LBB21_283
; %bb.281:
	v_mov_b32_e32 v1, 29
	v_cmp_eq_u16_sdwa s[8:9], v27, v1 src0_sel:BYTE_0 src1_sel:DWORD
	s_mov_b64 s[4:5], -1
	s_and_b64 vcc, exec, s[8:9]
	s_cbranch_vccz .LBB21_283
; %bb.282:
	v_trunc_f32_e32 v1, v0
	v_mul_f32_e32 v4, 0x2f800000, v1
	v_floor_f32_e32 v4, v4
	v_fmac_f32_e32 v1, 0xcf800000, v4
	v_cvt_u32_f32_e32 v5, v4
	v_cvt_u32_f32_e32 v4, v1
	s_mov_b64 s[6:7], -1
	s_mov_b64 s[4:5], 0
	s_mov_b64 s[8:9], 0
	global_store_dwordx2 v[2:3], v[4:5], off
	s_branch .LBB21_284
.LBB21_283:
	s_mov_b64 s[8:9], 0
.LBB21_284:
	s_and_b64 vcc, exec, s[8:9]
	s_cbranch_vccz .LBB21_300
; %bb.285:
	v_mov_b32_e32 v1, 27
	v_cmp_lt_i16_sdwa s[8:9], v27, v1 src0_sel:BYTE_0 src1_sel:DWORD
	s_mov_b64 s[6:7], -1
	s_and_b64 vcc, exec, s[8:9]
	s_cbranch_vccnz .LBB21_291
; %bb.286:
	v_cmp_gt_i16_sdwa s[8:9], v27, v1 src0_sel:BYTE_0 src1_sel:DWORD
	v_cvt_u32_f32_e32 v1, v0
	s_and_b64 vcc, exec, s[8:9]
	s_cbranch_vccz .LBB21_288
; %bb.287:
	s_mov_b64 s[6:7], 0
	global_store_dword v[2:3], v1, off
.LBB21_288:
	s_andn2_b64 vcc, exec, s[6:7]
	s_cbranch_vccnz .LBB21_290
; %bb.289:
	global_store_short v[2:3], v1, off
.LBB21_290:
	s_mov_b64 s[6:7], 0
.LBB21_291:
	s_andn2_b64 vcc, exec, s[6:7]
	s_cbranch_vccnz .LBB21_299
; %bb.292:
	v_and_b32_e32 v1, 0x7fffffff, v0
	s_mov_b32 s6, 0x43800000
	v_cmp_gt_u32_e32 vcc, s6, v1
	v_mov_b32_e32 v4, 0x80
	s_and_saveexec_b64 s[6:7], vcc
	s_cbranch_execz .LBB21_298
; %bb.293:
	s_mov_b32 s8, 0x3bffffff
	v_cmp_lt_u32_e32 vcc, s8, v1
	s_mov_b64 s[8:9], 0
                                        ; implicit-def: $vgpr1
	s_and_saveexec_b64 s[10:11], vcc
	s_xor_b64 s[10:11], exec, s[10:11]
	s_cbranch_execz .LBB21_1006
; %bb.294:
	v_bfe_u32 v1, v0, 20, 1
	s_mov_b32 s12, 0x487ffff
	v_add3_u32 v1, v0, v1, s12
	s_mov_b64 s[8:9], exec
	v_lshrrev_b32_e32 v1, 20, v1
	s_or_saveexec_b64 s[10:11], s[10:11]
                                        ; implicit-def: $sgpr12
	s_xor_b64 exec, exec, s[10:11]
	s_cbranch_execnz .LBB21_1007
.LBB21_295:
	s_or_b64 exec, exec, s[10:11]
	v_mov_b32_e32 v4, s12
	s_and_saveexec_b64 s[10:11], s[8:9]
.LBB21_296:
	v_lshrrev_b32_e32 v4, 24, v0
	s_movk_i32 s8, 0x80
	v_and_or_b32 v4, v4, s8, v1
.LBB21_297:
	s_or_b64 exec, exec, s[10:11]
.LBB21_298:
	s_or_b64 exec, exec, s[6:7]
	global_store_byte v[2:3], v4, off
.LBB21_299:
	s_mov_b64 s[6:7], -1
.LBB21_300:
	s_mov_b64 s[8:9], 0
.LBB21_301:
	s_and_b64 vcc, exec, s[8:9]
	s_cbranch_vccz .LBB21_342
; %bb.302:
	v_mov_b32_e32 v1, 22
	v_cmp_gt_i16_sdwa s[10:11], v27, v1 src0_sel:BYTE_0 src1_sel:DWORD
	s_mov_b64 s[8:9], -1
	s_and_b64 vcc, exec, s[10:11]
	s_cbranch_vccz .LBB21_334
; %bb.303:
	v_mov_b32_e32 v1, 24
	v_cmp_lt_i16_sdwa s[8:9], v27, v1 src0_sel:BYTE_0 src1_sel:DWORD
	s_mov_b64 s[6:7], -1
	s_and_b64 vcc, exec, s[8:9]
	s_cbranch_vccnz .LBB21_323
; %bb.304:
	v_cmp_gt_i16_sdwa s[8:9], v27, v1 src0_sel:BYTE_0 src1_sel:DWORD
	s_and_b64 vcc, exec, s[8:9]
	s_cbranch_vccz .LBB21_312
; %bb.305:
	v_and_b32_e32 v1, 0x7fffffff, v0
	s_mov_b32 s6, 0x47800000
	v_cmp_gt_u32_e32 vcc, s6, v1
	v_mov_b32_e32 v4, 0x80
	s_and_saveexec_b64 s[6:7], vcc
	s_cbranch_execz .LBB21_311
; %bb.306:
	s_mov_b32 s8, 0x37ffffff
	v_cmp_lt_u32_e32 vcc, s8, v1
	s_mov_b64 s[8:9], 0
                                        ; implicit-def: $vgpr1
	s_and_saveexec_b64 s[10:11], vcc
	s_xor_b64 s[10:11], exec, s[10:11]
	s_cbranch_execz .LBB21_1013
; %bb.307:
	v_bfe_u32 v1, v0, 21, 1
	s_mov_b32 s12, 0x88fffff
	v_add3_u32 v1, v0, v1, s12
	s_mov_b64 s[8:9], exec
	v_lshrrev_b32_e32 v1, 21, v1
	s_or_saveexec_b64 s[10:11], s[10:11]
                                        ; implicit-def: $sgpr12
	s_xor_b64 exec, exec, s[10:11]
	s_cbranch_execnz .LBB21_1014
.LBB21_308:
	s_or_b64 exec, exec, s[10:11]
	v_mov_b32_e32 v4, s12
	s_and_saveexec_b64 s[10:11], s[8:9]
.LBB21_309:
	v_lshrrev_b32_e32 v4, 24, v0
	s_movk_i32 s8, 0x80
	v_and_or_b32 v4, v4, s8, v1
.LBB21_310:
	s_or_b64 exec, exec, s[10:11]
.LBB21_311:
	s_or_b64 exec, exec, s[6:7]
	s_mov_b64 s[6:7], 0
	global_store_byte v[2:3], v4, off
.LBB21_312:
	s_and_b64 vcc, exec, s[6:7]
	s_cbranch_vccz .LBB21_322
; %bb.313:
	v_and_b32_e32 v4, 0x7fffffff, v0
	s_mov_b32 s6, 0x43f00000
	v_cmp_gt_u32_e32 vcc, s6, v4
                                        ; implicit-def: $vgpr1
	s_and_saveexec_b64 s[6:7], vcc
	s_xor_b64 s[6:7], exec, s[6:7]
	s_cbranch_execz .LBB21_319
; %bb.314:
	s_mov_b32 s8, 0x3c7fffff
	v_cmp_lt_u32_e32 vcc, s8, v4
                                        ; implicit-def: $vgpr1
	s_and_saveexec_b64 s[8:9], vcc
	s_xor_b64 s[8:9], exec, s[8:9]
; %bb.315:
	v_bfe_u32 v1, v0, 20, 1
	s_mov_b32 s10, 0x407ffff
	v_add3_u32 v1, v0, v1, s10
	v_lshrrev_b32_e32 v4, 20, v1
	v_and_b32_e32 v1, 0xff00000, v1
	s_mov_b32 s10, 0x7f00000
	v_mov_b32_e32 v5, 0x7e
	v_cmp_ne_u32_e32 vcc, s10, v1
	v_cndmask_b32_e32 v1, v5, v4, vcc
; %bb.316:
	s_andn2_saveexec_b64 s[8:9], s[8:9]
; %bb.317:
	s_mov_b32 s10, 0x46800000
	v_add_f32_e64 v1, |v0|, s10
; %bb.318:
	s_or_b64 exec, exec, s[8:9]
                                        ; implicit-def: $vgpr4
.LBB21_319:
	s_andn2_saveexec_b64 s[6:7], s[6:7]
; %bb.320:
	s_mov_b32 s8, 0x7f800000
	v_mov_b32_e32 v1, 0x7e
	v_mov_b32_e32 v5, 0x7f
	v_cmp_lt_u32_e32 vcc, s8, v4
	v_cndmask_b32_e32 v1, v1, v5, vcc
; %bb.321:
	s_or_b64 exec, exec, s[6:7]
	v_lshrrev_b32_e32 v4, 24, v0
	s_movk_i32 s6, 0x80
	v_and_or_b32 v1, v4, s6, v1
	global_store_byte v[2:3], v1, off
.LBB21_322:
	s_mov_b64 s[6:7], 0
.LBB21_323:
	s_andn2_b64 vcc, exec, s[6:7]
	s_cbranch_vccnz .LBB21_333
; %bb.324:
	v_and_b32_e32 v4, 0x7fffffff, v0
	s_mov_b32 s6, 0x47800000
	v_cmp_gt_u32_e32 vcc, s6, v4
                                        ; implicit-def: $vgpr1
	s_and_saveexec_b64 s[6:7], vcc
	s_xor_b64 s[6:7], exec, s[6:7]
	s_cbranch_execz .LBB21_330
; %bb.325:
	s_mov_b32 s8, 0x387fffff
	v_cmp_lt_u32_e32 vcc, s8, v4
                                        ; implicit-def: $vgpr1
	s_and_saveexec_b64 s[8:9], vcc
	s_xor_b64 s[8:9], exec, s[8:9]
; %bb.326:
	v_bfe_u32 v1, v0, 21, 1
	s_mov_b32 s10, 0x80fffff
	v_add3_u32 v1, v0, v1, s10
	v_lshrrev_b32_e32 v1, 21, v1
; %bb.327:
	s_andn2_saveexec_b64 s[8:9], s[8:9]
; %bb.328:
	s_mov_b32 s10, 0x43000000
	v_add_f32_e64 v1, |v0|, s10
; %bb.329:
	s_or_b64 exec, exec, s[8:9]
                                        ; implicit-def: $vgpr4
.LBB21_330:
	s_andn2_saveexec_b64 s[6:7], s[6:7]
; %bb.331:
	s_mov_b32 s8, 0x7f800000
	v_mov_b32_e32 v1, 0x7c
	v_mov_b32_e32 v5, 0x7f
	v_cmp_lt_u32_e32 vcc, s8, v4
	v_cndmask_b32_e32 v1, v1, v5, vcc
; %bb.332:
	s_or_b64 exec, exec, s[6:7]
	v_lshrrev_b32_e32 v4, 24, v0
	s_movk_i32 s6, 0x80
	v_and_or_b32 v1, v4, s6, v1
	global_store_byte v[2:3], v1, off
.LBB21_333:
	s_mov_b64 s[8:9], 0
	s_mov_b64 s[6:7], -1
.LBB21_334:
	s_andn2_b64 vcc, exec, s[8:9]
	s_cbranch_vccnz .LBB21_342
; %bb.335:
	v_mov_b32_e32 v1, 14
	v_cmp_gt_i16_sdwa s[10:11], v27, v1 src0_sel:BYTE_0 src1_sel:DWORD
	s_mov_b64 s[8:9], -1
	s_and_b64 vcc, exec, s[10:11]
	s_cbranch_vccz .LBB21_339
; %bb.336:
	v_mov_b32_e32 v1, 15
	v_cmp_eq_u16_sdwa s[8:9], v27, v1 src0_sel:BYTE_0 src1_sel:DWORD
	s_mov_b64 s[4:5], -1
	s_and_b64 vcc, exec, s[8:9]
	s_cbranch_vccz .LBB21_338
; %bb.337:
	v_bfe_u32 v1, v0, 16, 1
	s_movk_i32 s4, 0x7fff
	v_add3_u32 v1, v0, v1, s4
	v_lshrrev_b32_e32 v1, 16, v1
	v_mov_b32_e32 v4, 0x7fc0
	v_cmp_o_f32_e32 vcc, v0, v0
	v_cndmask_b32_e32 v1, v4, v1, vcc
	global_store_short v[2:3], v1, off
	s_mov_b64 s[6:7], -1
	s_mov_b64 s[4:5], 0
.LBB21_338:
	s_mov_b64 s[8:9], 0
.LBB21_339:
	s_and_b64 vcc, exec, s[8:9]
	s_cbranch_vccz .LBB21_342
; %bb.340:
	v_mov_b32_e32 v1, 11
	v_cmp_eq_u16_sdwa s[8:9], v27, v1 src0_sel:BYTE_0 src1_sel:DWORD
	s_mov_b64 s[4:5], -1
	s_and_b64 vcc, exec, s[8:9]
	s_cbranch_vccz .LBB21_342
; %bb.341:
	v_cmp_neq_f32_e32 vcc, 0, v0
	v_cndmask_b32_e64 v1, 0, 1, vcc
	s_mov_b64 s[6:7], -1
	s_mov_b64 s[4:5], 0
	global_store_byte v[2:3], v1, off
.LBB21_342:
	s_mov_b64 s[8:9], 0
.LBB21_343:
	s_and_b64 vcc, exec, s[8:9]
	s_cbranch_vccz .LBB21_382
; %bb.344:
	v_mov_b32_e32 v1, 5
	v_cmp_lt_i16_sdwa s[8:9], v27, v1 src0_sel:BYTE_0 src1_sel:DWORD
	s_mov_b64 s[6:7], -1
	s_and_b64 vcc, exec, s[8:9]
	s_cbranch_vccnz .LBB21_365
; %bb.345:
	v_mov_b32_e32 v1, 8
	v_cmp_lt_i16_sdwa s[8:9], v27, v1 src0_sel:BYTE_0 src1_sel:DWORD
	s_and_b64 vcc, exec, s[8:9]
	s_cbranch_vccnz .LBB21_355
; %bb.346:
	v_mov_b32_e32 v1, 9
	v_cmp_lt_i16_sdwa s[8:9], v27, v1 src0_sel:BYTE_0 src1_sel:DWORD
	s_and_b64 vcc, exec, s[8:9]
	s_cbranch_vccnz .LBB21_352
; %bb.347:
	v_cmp_gt_i16_sdwa s[8:9], v27, v1 src0_sel:BYTE_0 src1_sel:DWORD
	s_and_b64 vcc, exec, s[8:9]
	s_cbranch_vccz .LBB21_349
; %bb.348:
	v_mov_b32_e32 v6, 0
	v_cvt_f64_f32_e32 v[4:5], v0
	v_mov_b32_e32 v7, v6
	s_mov_b64 s[6:7], 0
	global_store_dwordx4 v[2:3], v[4:7], off
.LBB21_349:
	s_andn2_b64 vcc, exec, s[6:7]
	s_cbranch_vccnz .LBB21_351
; %bb.350:
	v_mov_b32_e32 v1, 0
	global_store_dwordx2 v[2:3], v[0:1], off
.LBB21_351:
	s_mov_b64 s[6:7], 0
.LBB21_352:
	s_andn2_b64 vcc, exec, s[6:7]
	s_cbranch_vccnz .LBB21_354
; %bb.353:
	v_cvt_f16_f32_e32 v1, v0
	global_store_dword v[2:3], v1, off
.LBB21_354:
	s_mov_b64 s[6:7], 0
.LBB21_355:
	s_andn2_b64 vcc, exec, s[6:7]
	s_cbranch_vccnz .LBB21_364
; %bb.356:
	v_mov_b32_e32 v1, 6
	v_cmp_lt_i16_sdwa s[8:9], v27, v1 src0_sel:BYTE_0 src1_sel:DWORD
	s_mov_b64 s[6:7], -1
	s_and_b64 vcc, exec, s[8:9]
	s_cbranch_vccnz .LBB21_362
; %bb.357:
	v_cmp_gt_i16_sdwa s[8:9], v27, v1 src0_sel:BYTE_0 src1_sel:DWORD
	s_and_b64 vcc, exec, s[8:9]
	s_cbranch_vccz .LBB21_359
; %bb.358:
	v_cvt_f64_f32_e32 v[4:5], v0
	s_mov_b64 s[6:7], 0
	global_store_dwordx2 v[2:3], v[4:5], off
.LBB21_359:
	s_andn2_b64 vcc, exec, s[6:7]
	s_cbranch_vccnz .LBB21_361
; %bb.360:
	global_store_dword v[2:3], v0, off
.LBB21_361:
	s_mov_b64 s[6:7], 0
.LBB21_362:
	s_andn2_b64 vcc, exec, s[6:7]
	s_cbranch_vccnz .LBB21_364
; %bb.363:
	v_cvt_f16_f32_e32 v1, v0
	global_store_short v[2:3], v1, off
.LBB21_364:
	s_mov_b64 s[6:7], 0
.LBB21_365:
	s_andn2_b64 vcc, exec, s[6:7]
	s_cbranch_vccnz .LBB21_381
; %bb.366:
	v_mov_b32_e32 v1, 2
	v_cmp_lt_i16_sdwa s[8:9], v27, v1 src0_sel:BYTE_0 src1_sel:DWORD
	s_mov_b64 s[6:7], -1
	s_and_b64 vcc, exec, s[8:9]
	s_cbranch_vccnz .LBB21_376
; %bb.367:
	v_mov_b32_e32 v1, 3
	v_cmp_lt_i16_sdwa s[8:9], v27, v1 src0_sel:BYTE_0 src1_sel:DWORD
	s_and_b64 vcc, exec, s[8:9]
	s_cbranch_vccnz .LBB21_373
; %bb.368:
	v_cmp_gt_i16_sdwa s[8:9], v27, v1 src0_sel:BYTE_0 src1_sel:DWORD
	s_and_b64 vcc, exec, s[8:9]
	s_cbranch_vccz .LBB21_370
; %bb.369:
	v_trunc_f32_e32 v1, v0
	s_mov_b32 s6, 0x2f800000
	v_mul_f32_e64 v4, |v1|, s6
	v_floor_f32_e32 v4, v4
	s_mov_b32 s6, 0xcf800000
	v_cvt_u32_f32_e32 v5, v4
	v_fma_f32 v4, v4, s6, |v1|
	v_cvt_u32_f32_e32 v4, v4
	v_ashrrev_i32_e32 v1, 31, v1
	v_xor_b32_e32 v5, v5, v1
	s_mov_b64 s[6:7], 0
	v_xor_b32_e32 v4, v4, v1
	v_sub_co_u32_e32 v4, vcc, v4, v1
	v_subb_co_u32_e32 v5, vcc, v5, v1, vcc
	global_store_dwordx2 v[2:3], v[4:5], off
.LBB21_370:
	s_andn2_b64 vcc, exec, s[6:7]
	s_cbranch_vccnz .LBB21_372
; %bb.371:
	v_cvt_i32_f32_e32 v1, v0
	global_store_dword v[2:3], v1, off
.LBB21_372:
	s_mov_b64 s[6:7], 0
.LBB21_373:
	s_andn2_b64 vcc, exec, s[6:7]
	s_cbranch_vccnz .LBB21_375
; %bb.374:
	v_cvt_i32_f32_e32 v1, v0
	global_store_short v[2:3], v1, off
.LBB21_375:
	s_mov_b64 s[6:7], 0
.LBB21_376:
	s_andn2_b64 vcc, exec, s[6:7]
	s_cbranch_vccnz .LBB21_381
; %bb.377:
	v_mov_b32_e32 v1, 0
	v_cmp_gt_i16_sdwa s[8:9], v27, v1 src0_sel:BYTE_0 src1_sel:DWORD
	s_mov_b64 s[6:7], -1
	s_and_b64 vcc, exec, s[8:9]
	s_cbranch_vccz .LBB21_379
; %bb.378:
	v_cvt_i32_f32_e32 v1, v0
	s_mov_b64 s[6:7], 0
	global_store_byte v[2:3], v1, off
.LBB21_379:
	s_andn2_b64 vcc, exec, s[6:7]
	s_cbranch_vccnz .LBB21_381
; %bb.380:
	v_trunc_f32_e32 v0, v0
	s_mov_b32 s6, 0x2f800000
	v_mul_f32_e64 v1, |v0|, s6
	v_floor_f32_e32 v1, v1
	s_mov_b32 s6, 0xcf800000
	v_fma_f32 v1, v1, s6, |v0|
	v_cvt_u32_f32_e32 v1, v1
	v_ashrrev_i32_e32 v0, 31, v0
	v_xor_b32_e32 v1, v1, v0
	v_sub_u32_e32 v0, v1, v0
	global_store_byte v[2:3], v0, off
.LBB21_381:
	s_mov_b64 s[6:7], -1
.LBB21_382:
	s_andn2_b64 vcc, exec, s[6:7]
	s_cbranch_vccnz .LBB21_384
; %bb.383:
	v_add_u32_e32 v21, 0x80, v21
	s_mov_b64 s[6:7], -1
	s_branch .LBB21_385
.LBB21_384:
	s_mov_b64 s[6:7], 0
                                        ; implicit-def: $vgpr21
.LBB21_385:
	s_andn2_b64 s[8:9], s[46:47], exec
	s_and_b64 s[4:5], s[4:5], exec
	s_or_b64 s[52:53], s[8:9], s[4:5]
	s_orn2_b64 s[6:7], s[6:7], exec
.LBB21_386:
	s_or_b64 exec, exec, s[50:51]
	s_mov_b64 s[4:5], 0
	s_mov_b64 s[10:11], 0
                                        ; implicit-def: $vgpr4
                                        ; implicit-def: $vgpr2_vgpr3
                                        ; implicit-def: $vgpr0
	s_and_saveexec_b64 s[50:51], s[6:7]
	s_cbranch_execz .LBB21_466
; %bb.387:
	v_cmp_gt_i32_e32 vcc, s33, v21
	s_mov_b64 s[6:7], 0
	s_mov_b64 s[8:9], s[52:53]
                                        ; implicit-def: $vgpr4
                                        ; implicit-def: $vgpr2_vgpr3
                                        ; implicit-def: $vgpr0
	s_and_saveexec_b64 s[54:55], vcc
	s_cbranch_execz .LBB21_465
; %bb.388:
	v_mov_b32_e32 v0, s38
	v_mov_b32_e32 v1, s39
	;; [unrolled: 1-line block ×5, first 2 shown]
	s_getpc_b64 s[4:5]
	s_add_u32 s4, s4, _ZN2at6native6invokeIZZZNS0_12_GLOBAL__N_130modified_bessel_k0_kernel_cudaERNS_18TensorIteratorBaseEENKUlvE_clEvENKUlvE0_clEvEUlfE_i15function_traitsIS7_EEENT1_11result_typeERKT_PrKPcPKT0_PKN3c1010ScalarTypeEi@rel32@lo+4
	s_addc_u32 s5, s5, _ZN2at6native6invokeIZZZNS0_12_GLOBAL__N_130modified_bessel_k0_kernel_cudaERNS_18TensorIteratorBaseEENKUlvE_clEvENKUlvE0_clEvEUlfE_i15function_traitsIS7_EEENT1_11result_typeERKT_PrKPcPKT0_PKN3c1010ScalarTypeEi@rel32@hi+12
	s_swappc_b64 s[30:31], s[4:5]
	v_mul_lo_u32 v1, v21, s28
	v_ashrrev_i32_e32 v3, 31, v1
	v_mov_b32_e32 v4, s37
	v_add_co_u32_e32 v2, vcc, s36, v1
	v_addc_co_u32_e32 v3, vcc, v4, v3, vcc
	v_and_b32_e32 v4, 0xff, v27
	v_cmp_gt_i16_e32 vcc, 11, v4
	s_cbranch_vccnz .LBB21_405
; %bb.389:
	v_cmp_lt_i16_e32 vcc, 25, v4
	s_mov_b64 s[8:9], -1
	s_mov_b64 s[4:5], s[52:53]
	s_cbranch_vccz .LBB21_423
; %bb.390:
	v_cmp_lt_i16_e32 vcc, 28, v4
	s_mov_b64 s[6:7], -1
	s_mov_b64 s[4:5], s[52:53]
	s_cbranch_vccz .LBB21_407
; %bb.391:
	v_cmp_lt_i16_e32 vcc, 43, v4
	s_mov_b64 s[4:5], s[52:53]
	s_cbranch_vccz .LBB21_402
; %bb.392:
	v_cmp_lt_i16_e32 vcc, 45, v4
	s_mov_b64 s[4:5], s[52:53]
	s_cbranch_vccz .LBB21_396
; %bb.393:
	v_cmp_eq_u16_e32 vcc, 46, v4
	s_mov_b64 s[4:5], -1
	s_cbranch_vccz .LBB21_395
; %bb.394:
	v_bfe_u32 v1, v0, 16, 1
	s_movk_i32 s4, 0x7fff
	v_add3_u32 v1, v0, v1, s4
	v_lshrrev_b32_e32 v1, 16, v1
	v_mov_b32_e32 v5, 0x7fc0
	v_cmp_o_f32_e32 vcc, v0, v0
	v_cndmask_b32_e32 v1, v5, v1, vcc
	global_store_dword v[2:3], v1, off
	s_mov_b64 s[4:5], 0
.LBB21_395:
	s_mov_b64 s[6:7], 0
.LBB21_396:
	s_and_b64 vcc, exec, s[6:7]
	s_cbranch_vccz .LBB21_401
; %bb.397:
	v_cmp_eq_u16_e32 vcc, 44, v4
	s_mov_b64 s[4:5], -1
	s_cbranch_vccz .LBB21_401
; %bb.398:
	v_bfe_u32 v1, v0, 23, 8
	s_movk_i32 s4, 0xff
	v_cmp_ne_u32_e32 vcc, s4, v1
	v_mov_b32_e32 v5, 0xff
	s_and_saveexec_b64 s[6:7], vcc
; %bb.399:
	s_mov_b32 s4, 0x3fffff
	v_and_b32_e32 v6, 0x400000, v0
	v_and_or_b32 v1, v0, s4, v1
	v_cmp_ne_u32_e32 vcc, 0, v6
	v_cmp_ne_u32_e64 s[4:5], 0, v1
	s_and_b64 s[4:5], vcc, s[4:5]
	v_lshrrev_b32_e32 v5, 23, v0
	v_cndmask_b32_e64 v1, 0, 1, s[4:5]
	v_add_u32_e32 v5, v5, v1
; %bb.400:
	s_or_b64 exec, exec, s[6:7]
	s_mov_b64 s[4:5], 0
	global_store_byte v[2:3], v5, off
.LBB21_401:
	s_mov_b64 s[6:7], 0
.LBB21_402:
	s_and_b64 vcc, exec, s[6:7]
	s_cbranch_vccz .LBB21_406
; %bb.403:
	v_cmp_eq_u16_e32 vcc, 29, v4
	s_mov_b64 s[4:5], -1
	s_cbranch_vccz .LBB21_406
; %bb.404:
	v_trunc_f32_e32 v1, v0
	v_mul_f32_e32 v5, 0x2f800000, v1
	v_floor_f32_e32 v5, v5
	v_fmac_f32_e32 v1, 0xcf800000, v5
	v_cvt_u32_f32_e32 v7, v5
	v_cvt_u32_f32_e32 v6, v1
	s_mov_b64 s[4:5], 0
	s_mov_b64 s[6:7], 0
	global_store_dwordx2 v[2:3], v[6:7], off
	s_branch .LBB21_407
.LBB21_405:
	s_mov_b64 s[8:9], 0
	s_mov_b64 s[6:7], -1
	s_mov_b64 s[4:5], s[52:53]
	s_branch .LBB21_464
.LBB21_406:
	s_mov_b64 s[6:7], 0
.LBB21_407:
	s_and_b64 vcc, exec, s[6:7]
	s_cbranch_vccz .LBB21_422
; %bb.408:
	v_cmp_gt_i16_e32 vcc, 27, v4
	s_mov_b64 s[6:7], -1
	s_cbranch_vccnz .LBB21_414
; %bb.409:
	v_cvt_u32_f32_e32 v1, v0
	v_cmp_lt_i16_e32 vcc, 27, v4
	s_cbranch_vccz .LBB21_411
; %bb.410:
	s_mov_b64 s[6:7], 0
	global_store_dword v[2:3], v1, off
.LBB21_411:
	s_andn2_b64 vcc, exec, s[6:7]
	s_cbranch_vccnz .LBB21_413
; %bb.412:
	global_store_short v[2:3], v1, off
.LBB21_413:
	s_mov_b64 s[6:7], 0
.LBB21_414:
	s_andn2_b64 vcc, exec, s[6:7]
	s_cbranch_vccnz .LBB21_422
; %bb.415:
	v_and_b32_e32 v1, 0x7fffffff, v0
	s_mov_b32 s6, 0x43800000
	v_cmp_gt_u32_e32 vcc, s6, v1
	v_mov_b32_e32 v5, 0x80
	s_and_saveexec_b64 s[6:7], vcc
	s_cbranch_execz .LBB21_421
; %bb.416:
	s_mov_b32 s8, 0x3bffffff
	v_cmp_lt_u32_e32 vcc, s8, v1
	s_mov_b64 s[8:9], 0
                                        ; implicit-def: $vgpr1
	s_and_saveexec_b64 s[10:11], vcc
	s_xor_b64 s[10:11], exec, s[10:11]
	s_cbranch_execz .LBB21_1015
; %bb.417:
	v_bfe_u32 v1, v0, 20, 1
	s_mov_b32 s12, 0x487ffff
	v_add3_u32 v1, v0, v1, s12
	s_mov_b64 s[8:9], exec
	v_lshrrev_b32_e32 v1, 20, v1
	s_or_saveexec_b64 s[10:11], s[10:11]
                                        ; implicit-def: $sgpr12
	s_xor_b64 exec, exec, s[10:11]
	s_cbranch_execnz .LBB21_1016
.LBB21_418:
	s_or_b64 exec, exec, s[10:11]
	v_mov_b32_e32 v5, s12
	s_and_saveexec_b64 s[10:11], s[8:9]
.LBB21_419:
	v_lshrrev_b32_e32 v5, 24, v0
	s_movk_i32 s8, 0x80
	v_and_or_b32 v5, v5, s8, v1
.LBB21_420:
	s_or_b64 exec, exec, s[10:11]
.LBB21_421:
	s_or_b64 exec, exec, s[6:7]
	global_store_byte v[2:3], v5, off
.LBB21_422:
	s_mov_b64 s[8:9], 0
.LBB21_423:
	s_mov_b64 s[6:7], 0
	s_and_b64 vcc, exec, s[8:9]
	s_cbranch_vccz .LBB21_463
; %bb.424:
	v_cmp_lt_i16_e32 vcc, 22, v4
	s_mov_b64 s[8:9], -1
	s_cbranch_vccz .LBB21_456
; %bb.425:
	v_cmp_gt_i16_e32 vcc, 24, v4
	s_cbranch_vccnz .LBB21_445
; %bb.426:
	v_cmp_lt_i16_e32 vcc, 24, v4
	s_cbranch_vccz .LBB21_434
; %bb.427:
	v_and_b32_e32 v1, 0x7fffffff, v0
	s_mov_b32 s8, 0x47800000
	v_cmp_gt_u32_e32 vcc, s8, v1
	v_mov_b32_e32 v5, 0x80
	s_and_saveexec_b64 s[8:9], vcc
	s_cbranch_execz .LBB21_433
; %bb.428:
	s_mov_b32 s10, 0x37ffffff
	v_cmp_lt_u32_e32 vcc, s10, v1
	s_mov_b64 s[10:11], 0
                                        ; implicit-def: $vgpr1
	s_and_saveexec_b64 s[12:13], vcc
	s_xor_b64 s[12:13], exec, s[12:13]
	s_cbranch_execz .LBB21_1019
; %bb.429:
	v_bfe_u32 v1, v0, 21, 1
	s_mov_b32 s14, 0x88fffff
	v_add3_u32 v1, v0, v1, s14
	s_mov_b64 s[10:11], exec
	v_lshrrev_b32_e32 v1, 21, v1
	s_or_saveexec_b64 s[12:13], s[12:13]
                                        ; implicit-def: $sgpr14
	s_xor_b64 exec, exec, s[12:13]
	s_cbranch_execnz .LBB21_1020
.LBB21_430:
	s_or_b64 exec, exec, s[12:13]
	v_mov_b32_e32 v5, s14
	s_and_saveexec_b64 s[12:13], s[10:11]
.LBB21_431:
	v_lshrrev_b32_e32 v5, 24, v0
	s_movk_i32 s10, 0x80
	v_and_or_b32 v5, v5, s10, v1
.LBB21_432:
	s_or_b64 exec, exec, s[12:13]
.LBB21_433:
	s_or_b64 exec, exec, s[8:9]
	s_mov_b64 s[8:9], 0
	global_store_byte v[2:3], v5, off
.LBB21_434:
	s_and_b64 vcc, exec, s[8:9]
	s_cbranch_vccz .LBB21_444
; %bb.435:
	v_and_b32_e32 v5, 0x7fffffff, v0
	s_mov_b32 s8, 0x43f00000
	v_cmp_gt_u32_e32 vcc, s8, v5
                                        ; implicit-def: $vgpr1
	s_and_saveexec_b64 s[8:9], vcc
	s_xor_b64 s[8:9], exec, s[8:9]
	s_cbranch_execz .LBB21_441
; %bb.436:
	s_mov_b32 s10, 0x3c7fffff
	v_cmp_lt_u32_e32 vcc, s10, v5
                                        ; implicit-def: $vgpr1
	s_and_saveexec_b64 s[10:11], vcc
	s_xor_b64 s[10:11], exec, s[10:11]
; %bb.437:
	v_bfe_u32 v1, v0, 20, 1
	s_mov_b32 s12, 0x407ffff
	v_add3_u32 v1, v0, v1, s12
	v_lshrrev_b32_e32 v5, 20, v1
	v_and_b32_e32 v1, 0xff00000, v1
	s_mov_b32 s12, 0x7f00000
	v_mov_b32_e32 v6, 0x7e
	v_cmp_ne_u32_e32 vcc, s12, v1
	v_cndmask_b32_e32 v1, v6, v5, vcc
; %bb.438:
	s_andn2_saveexec_b64 s[10:11], s[10:11]
; %bb.439:
	s_mov_b32 s12, 0x46800000
	v_add_f32_e64 v1, |v0|, s12
; %bb.440:
	s_or_b64 exec, exec, s[10:11]
                                        ; implicit-def: $vgpr5
.LBB21_441:
	s_andn2_saveexec_b64 s[8:9], s[8:9]
; %bb.442:
	s_mov_b32 s10, 0x7f800000
	v_mov_b32_e32 v1, 0x7e
	v_mov_b32_e32 v6, 0x7f
	v_cmp_lt_u32_e32 vcc, s10, v5
	v_cndmask_b32_e32 v1, v1, v6, vcc
; %bb.443:
	s_or_b64 exec, exec, s[8:9]
	v_lshrrev_b32_e32 v5, 24, v0
	s_movk_i32 s8, 0x80
	v_and_or_b32 v1, v5, s8, v1
	global_store_byte v[2:3], v1, off
.LBB21_444:
	s_mov_b64 s[8:9], 0
.LBB21_445:
	s_andn2_b64 vcc, exec, s[8:9]
	s_cbranch_vccnz .LBB21_455
; %bb.446:
	v_and_b32_e32 v5, 0x7fffffff, v0
	s_mov_b32 s8, 0x47800000
	v_cmp_gt_u32_e32 vcc, s8, v5
                                        ; implicit-def: $vgpr1
	s_and_saveexec_b64 s[8:9], vcc
	s_xor_b64 s[8:9], exec, s[8:9]
	s_cbranch_execz .LBB21_452
; %bb.447:
	s_mov_b32 s10, 0x387fffff
	v_cmp_lt_u32_e32 vcc, s10, v5
                                        ; implicit-def: $vgpr1
	s_and_saveexec_b64 s[10:11], vcc
	s_xor_b64 s[10:11], exec, s[10:11]
; %bb.448:
	v_bfe_u32 v1, v0, 21, 1
	s_mov_b32 s12, 0x80fffff
	v_add3_u32 v1, v0, v1, s12
	v_lshrrev_b32_e32 v1, 21, v1
; %bb.449:
	s_andn2_saveexec_b64 s[10:11], s[10:11]
; %bb.450:
	s_mov_b32 s12, 0x43000000
	v_add_f32_e64 v1, |v0|, s12
; %bb.451:
	s_or_b64 exec, exec, s[10:11]
                                        ; implicit-def: $vgpr5
.LBB21_452:
	s_andn2_saveexec_b64 s[8:9], s[8:9]
; %bb.453:
	s_mov_b32 s10, 0x7f800000
	v_mov_b32_e32 v1, 0x7c
	v_mov_b32_e32 v6, 0x7f
	v_cmp_lt_u32_e32 vcc, s10, v5
	v_cndmask_b32_e32 v1, v1, v6, vcc
; %bb.454:
	s_or_b64 exec, exec, s[8:9]
	v_lshrrev_b32_e32 v5, 24, v0
	s_movk_i32 s8, 0x80
	v_and_or_b32 v1, v5, s8, v1
	global_store_byte v[2:3], v1, off
.LBB21_455:
	s_mov_b64 s[8:9], 0
.LBB21_456:
	s_andn2_b64 vcc, exec, s[8:9]
	s_mov_b64 s[8:9], 0
	s_cbranch_vccnz .LBB21_464
; %bb.457:
	v_cmp_lt_i16_e32 vcc, 14, v4
	s_mov_b64 s[10:11], -1
	s_cbranch_vccz .LBB21_461
; %bb.458:
	v_cmp_eq_u16_e32 vcc, 15, v4
	s_mov_b64 s[4:5], -1
	s_cbranch_vccz .LBB21_460
; %bb.459:
	v_bfe_u32 v1, v0, 16, 1
	s_movk_i32 s4, 0x7fff
	v_add3_u32 v1, v0, v1, s4
	v_lshrrev_b32_e32 v1, 16, v1
	v_mov_b32_e32 v5, 0x7fc0
	v_cmp_o_f32_e32 vcc, v0, v0
	v_cndmask_b32_e32 v1, v5, v1, vcc
	global_store_short v[2:3], v1, off
	s_mov_b64 s[4:5], 0
.LBB21_460:
	s_mov_b64 s[10:11], 0
.LBB21_461:
	s_and_b64 vcc, exec, s[10:11]
	s_cbranch_vccz .LBB21_464
; %bb.462:
	v_cmp_ne_u16_e32 vcc, 11, v4
	s_andn2_b64 s[4:5], s[4:5], exec
	s_and_b64 s[10:11], vcc, exec
	s_mov_b64 s[8:9], -1
	s_or_b64 s[4:5], s[4:5], s[10:11]
	s_branch .LBB21_464
.LBB21_463:
	s_mov_b64 s[8:9], 0
.LBB21_464:
	s_and_b64 s[10:11], s[6:7], exec
	s_and_b64 s[6:7], s[8:9], exec
	s_andn2_b64 s[8:9], s[52:53], exec
	s_and_b64 s[4:5], s[4:5], exec
	s_or_b64 s[8:9], s[8:9], s[4:5]
.LBB21_465:
	s_or_b64 exec, exec, s[54:55]
	s_and_b64 s[4:5], s[6:7], exec
	s_andn2_b64 s[6:7], s[52:53], exec
	s_and_b64 s[8:9], s[8:9], exec
	s_and_b64 s[10:11], s[10:11], exec
	s_or_b64 s[52:53], s[6:7], s[8:9]
.LBB21_466:
	s_or_b64 exec, exec, s[50:51]
	s_and_b64 s[6:7], s[10:11], exec
	s_andn2_b64 s[8:9], s[46:47], exec
	s_and_b64 s[10:11], s[52:53], exec
	s_and_b64 s[4:5], s[4:5], exec
	s_or_b64 s[46:47], s[8:9], s[10:11]
.LBB21_467:
	s_or_b64 exec, exec, s[48:49]
	s_and_b64 s[48:49], s[4:5], exec
	s_andn2_b64 s[4:5], s[42:43], exec
	s_and_b64 s[8:9], s[46:47], exec
	s_and_b64 s[6:7], s[6:7], exec
	s_or_b64 s[42:43], s[4:5], s[8:9]
	s_or_b64 exec, exec, s[44:45]
	s_mov_b64 s[4:5], 0
	s_and_saveexec_b64 s[8:9], s[42:43]
	s_cbranch_execz .LBB21_134
.LBB21_468:
	s_mov_b64 s[4:5], exec
	s_andn2_b64 s[48:49], s[48:49], exec
	s_trap 2
	s_or_b64 exec, exec, s[8:9]
	s_and_saveexec_b64 s[8:9], s[48:49]
	s_xor_b64 s[8:9], exec, s[8:9]
	s_cbranch_execnz .LBB21_135
.LBB21_469:
	s_or_b64 exec, exec, s[8:9]
	s_and_saveexec_b64 s[8:9], s[6:7]
	s_xor_b64 s[6:7], exec, s[8:9]
	s_cbranch_execz .LBB21_507
.LBB21_470:
	v_cmp_gt_i16_e32 vcc, 5, v4
	s_mov_b64 s[8:9], -1
	s_cbranch_vccnz .LBB21_491
; %bb.471:
	v_cmp_gt_i16_e32 vcc, 8, v4
	s_cbranch_vccnz .LBB21_481
; %bb.472:
	v_cmp_gt_i16_e32 vcc, 9, v4
	s_cbranch_vccnz .LBB21_478
; %bb.473:
	v_cmp_lt_i16_e32 vcc, 9, v4
	s_cbranch_vccz .LBB21_475
; %bb.474:
	v_mov_b32_e32 v8, 0
	v_cvt_f64_f32_e32 v[6:7], v0
	v_mov_b32_e32 v9, v8
	s_mov_b64 s[8:9], 0
	global_store_dwordx4 v[2:3], v[6:9], off
.LBB21_475:
	s_andn2_b64 vcc, exec, s[8:9]
	s_cbranch_vccnz .LBB21_477
; %bb.476:
	v_mov_b32_e32 v1, 0
	global_store_dwordx2 v[2:3], v[0:1], off
.LBB21_477:
	s_mov_b64 s[8:9], 0
.LBB21_478:
	s_andn2_b64 vcc, exec, s[8:9]
	s_cbranch_vccnz .LBB21_480
; %bb.479:
	v_cvt_f16_f32_e32 v1, v0
	global_store_dword v[2:3], v1, off
.LBB21_480:
	s_mov_b64 s[8:9], 0
.LBB21_481:
	s_andn2_b64 vcc, exec, s[8:9]
	s_cbranch_vccnz .LBB21_490
; %bb.482:
	v_cmp_gt_i16_e32 vcc, 6, v4
	s_mov_b64 s[8:9], -1
	s_cbranch_vccnz .LBB21_488
; %bb.483:
	v_cmp_lt_i16_e32 vcc, 6, v4
	s_cbranch_vccz .LBB21_485
; %bb.484:
	v_cvt_f64_f32_e32 v[6:7], v0
	s_mov_b64 s[8:9], 0
	global_store_dwordx2 v[2:3], v[6:7], off
.LBB21_485:
	s_andn2_b64 vcc, exec, s[8:9]
	s_cbranch_vccnz .LBB21_487
; %bb.486:
	global_store_dword v[2:3], v0, off
.LBB21_487:
	s_mov_b64 s[8:9], 0
.LBB21_488:
	s_andn2_b64 vcc, exec, s[8:9]
	s_cbranch_vccnz .LBB21_490
; %bb.489:
	v_cvt_f16_f32_e32 v1, v0
	global_store_short v[2:3], v1, off
.LBB21_490:
	s_mov_b64 s[8:9], 0
.LBB21_491:
	s_andn2_b64 vcc, exec, s[8:9]
	s_cbranch_vccnz .LBB21_507
; %bb.492:
	v_cmp_gt_i16_e32 vcc, 2, v4
	s_mov_b64 s[8:9], -1
	s_cbranch_vccnz .LBB21_502
; %bb.493:
	v_cmp_gt_i16_e32 vcc, 3, v4
	s_cbranch_vccnz .LBB21_499
; %bb.494:
	v_cmp_lt_i16_e32 vcc, 3, v4
	s_cbranch_vccz .LBB21_496
; %bb.495:
	v_trunc_f32_e32 v1, v0
	s_mov_b32 s8, 0x2f800000
	v_mul_f32_e64 v5, |v1|, s8
	v_floor_f32_e32 v5, v5
	s_mov_b32 s8, 0xcf800000
	v_cvt_u32_f32_e32 v6, v5
	v_fma_f32 v5, v5, s8, |v1|
	v_cvt_u32_f32_e32 v5, v5
	v_ashrrev_i32_e32 v1, 31, v1
	v_xor_b32_e32 v7, v6, v1
	s_mov_b64 s[8:9], 0
	v_xor_b32_e32 v5, v5, v1
	v_sub_co_u32_e32 v6, vcc, v5, v1
	v_subb_co_u32_e32 v7, vcc, v7, v1, vcc
	global_store_dwordx2 v[2:3], v[6:7], off
.LBB21_496:
	s_andn2_b64 vcc, exec, s[8:9]
	s_cbranch_vccnz .LBB21_498
; %bb.497:
	v_cvt_i32_f32_e32 v1, v0
	global_store_dword v[2:3], v1, off
.LBB21_498:
	s_mov_b64 s[8:9], 0
.LBB21_499:
	s_andn2_b64 vcc, exec, s[8:9]
	s_cbranch_vccnz .LBB21_501
; %bb.500:
	v_cvt_i32_f32_e32 v1, v0
	global_store_short v[2:3], v1, off
.LBB21_501:
	s_mov_b64 s[8:9], 0
.LBB21_502:
	s_andn2_b64 vcc, exec, s[8:9]
	s_cbranch_vccnz .LBB21_507
; %bb.503:
	v_cmp_lt_i16_e32 vcc, 0, v4
	s_mov_b64 s[8:9], -1
	s_cbranch_vccz .LBB21_505
; %bb.504:
	v_cvt_i32_f32_e32 v1, v0
	s_mov_b64 s[8:9], 0
	global_store_byte v[2:3], v1, off
.LBB21_505:
	s_andn2_b64 vcc, exec, s[8:9]
	s_cbranch_vccnz .LBB21_507
; %bb.506:
	v_trunc_f32_e32 v0, v0
	s_mov_b32 s8, 0x2f800000
	v_mul_f32_e64 v1, |v0|, s8
	v_floor_f32_e32 v1, v1
	s_mov_b32 s8, 0xcf800000
	v_fma_f32 v1, v1, s8, |v0|
	v_cvt_u32_f32_e32 v1, v1
	v_ashrrev_i32_e32 v0, 31, v0
	v_xor_b32_e32 v1, v1, v0
	v_sub_u32_e32 v0, v1, v0
	global_store_byte v[2:3], v0, off
.LBB21_507:
	s_or_b64 exec, exec, s[6:7]
	s_and_b64 s[42:43], s[4:5], exec
                                        ; implicit-def: $vgpr27
                                        ; implicit-def: $vgpr21
                                        ; implicit-def: $vgpr23
                                        ; implicit-def: $vgpr25
.LBB21_508:
	s_or_saveexec_b64 s[40:41], s[40:41]
	s_mov_b64 s[4:5], 0
                                        ; implicit-def: $vgpr4
                                        ; implicit-def: $vgpr2_vgpr3
                                        ; implicit-def: $vgpr0
	s_xor_b64 exec, exec, s[40:41]
	s_cbranch_execz .LBB21_960
; %bb.509:
	v_mov_b32_e32 v0, s38
	v_mov_b32_e32 v1, s39
	;; [unrolled: 1-line block ×5, first 2 shown]
	v_add_u32_e32 v20, 0x80, v21
	v_add_u32_e32 v26, 0x100, v21
	s_getpc_b64 s[34:35]
	s_add_u32 s34, s34, _ZN2at6native6invokeIZZZNS0_12_GLOBAL__N_130modified_bessel_k0_kernel_cudaERNS_18TensorIteratorBaseEENKUlvE_clEvENKUlvE0_clEvEUlfE_i15function_traitsIS7_EEENT1_11result_typeERKT_PrKPcPKT0_PKN3c1010ScalarTypeEi@rel32@lo+4
	s_addc_u32 s35, s35, _ZN2at6native6invokeIZZZNS0_12_GLOBAL__N_130modified_bessel_k0_kernel_cudaERNS_18TensorIteratorBaseEENKUlvE_clEvENKUlvE0_clEvEUlfE_i15function_traitsIS7_EEENT1_11result_typeERKT_PrKPcPKT0_PKN3c1010ScalarTypeEi@rel32@hi+12
	s_swappc_b64 s[30:31], s[34:35]
	v_mov_b32_e32 v24, v0
	v_mov_b32_e32 v0, s38
	v_mov_b32_e32 v1, s39
	v_mov_b32_e32 v2, s29
	v_mov_b32_e32 v3, v23
	v_mov_b32_e32 v4, v20
	s_swappc_b64 s[30:31], s[34:35]
	v_mov_b32_e32 v22, v0
	v_mov_b32_e32 v0, s38
	v_mov_b32_e32 v1, s39
	v_mov_b32_e32 v2, s29
	v_mov_b32_e32 v3, v23
	v_mov_b32_e32 v4, v26
	;; [unrolled: 7-line block ×3, first 2 shown]
	s_swappc_b64 s[30:31], s[34:35]
	v_mul_lo_u32 v1, s28, v21
	v_ashrrev_i32_e32 v3, 31, v1
	v_mov_b32_e32 v4, s37
	v_add_co_u32_e32 v2, vcc, s36, v1
	v_addc_co_u32_e32 v3, vcc, v4, v3, vcc
	v_mov_b32_e32 v4, 11
	v_cmp_lt_i16_sdwa s[4:5], v27, v4 src0_sel:BYTE_0 src1_sel:DWORD
	s_and_b64 vcc, exec, s[4:5]
	s_cbranch_vccnz .LBB21_516
; %bb.510:
	v_mov_b32_e32 v4, 25
	v_cmp_gt_i16_sdwa s[4:5], v27, v4 src0_sel:BYTE_0 src1_sel:DWORD
	s_mov_b64 s[6:7], -1
	s_mov_b64 s[8:9], 0
	s_and_b64 vcc, exec, s[4:5]
	s_mov_b64 s[10:11], 0
	s_mov_b64 s[4:5], 0
	s_cbranch_vccz .LBB21_547
; %bb.511:
	v_mov_b32_e32 v4, 28
	v_cmp_gt_i16_sdwa s[4:5], v27, v4 src0_sel:BYTE_0 src1_sel:DWORD
	s_and_b64 vcc, exec, s[4:5]
	s_cbranch_vccz .LBB21_518
; %bb.512:
	v_mov_b32_e32 v4, 43
	v_cmp_gt_i16_sdwa s[4:5], v27, v4 src0_sel:BYTE_0 src1_sel:DWORD
	s_and_b64 vcc, exec, s[4:5]
	;; [unrolled: 5-line block ×3, first 2 shown]
	s_cbranch_vccz .LBB21_520
; %bb.514:
	v_mov_b32_e32 v4, 46
	v_cmp_eq_u16_sdwa s[10:11], v27, v4 src0_sel:BYTE_0 src1_sel:DWORD
	s_mov_b64 s[4:5], -1
	s_mov_b64 s[6:7], 0
	s_and_b64 vcc, exec, s[10:11]
	s_mov_b64 s[10:11], 0
	s_cbranch_vccz .LBB21_521
; %bb.515:
	v_bfe_u32 v4, v24, 16, 1
	s_movk_i32 s4, 0x7fff
	v_add3_u32 v4, v24, v4, s4
	v_lshrrev_b32_e32 v4, 16, v4
	v_mov_b32_e32 v5, 0x7fc0
	v_cmp_o_f32_e32 vcc, v24, v24
	v_cndmask_b32_e32 v4, v5, v4, vcc
	global_store_dword v[2:3], v4, off
	s_mov_b64 s[4:5], 0
	s_mov_b64 s[10:11], -1
	s_branch .LBB21_521
.LBB21_516:
	s_mov_b64 s[10:11], 0
	s_mov_b64 s[6:7], s[42:43]
	s_cbranch_execnz .LBB21_591
.LBB21_517:
	s_andn2_b64 vcc, exec, s[10:11]
	s_cbranch_vccz .LBB21_629
	s_branch .LBB21_958
.LBB21_518:
	s_mov_b64 s[4:5], 0
	s_branch .LBB21_530
.LBB21_519:
	s_mov_b64 s[4:5], 0
	s_and_b64 vcc, exec, s[6:7]
	s_cbranch_vccnz .LBB21_527
	s_branch .LBB21_529
.LBB21_520:
	s_mov_b64 s[4:5], 0
.LBB21_521:
	s_and_b64 vcc, exec, s[6:7]
	s_cbranch_vccz .LBB21_526
; %bb.522:
	v_mov_b32_e32 v4, 44
	v_cmp_eq_u16_sdwa s[6:7], v27, v4 src0_sel:BYTE_0 src1_sel:DWORD
	s_mov_b64 s[4:5], -1
	s_and_b64 vcc, exec, s[6:7]
	s_cbranch_vccz .LBB21_526
; %bb.523:
	v_bfe_u32 v4, v24, 23, 8
	s_movk_i32 s4, 0xff
	v_cmp_ne_u32_e32 vcc, s4, v4
	v_mov_b32_e32 v5, 0xff
	s_and_saveexec_b64 s[6:7], vcc
; %bb.524:
	s_mov_b32 s4, 0x3fffff
	v_and_b32_e32 v6, 0x400000, v24
	v_and_or_b32 v4, v24, s4, v4
	v_cmp_ne_u32_e32 vcc, 0, v6
	v_cmp_ne_u32_e64 s[4:5], 0, v4
	s_and_b64 s[4:5], vcc, s[4:5]
	v_lshrrev_b32_e32 v5, 23, v24
	v_cndmask_b32_e64 v4, 0, 1, s[4:5]
	v_add_u32_e32 v5, v5, v4
; %bb.525:
	s_or_b64 exec, exec, s[6:7]
	s_mov_b64 s[4:5], 0
	s_mov_b64 s[10:11], -1
	global_store_byte v[2:3], v5, off
.LBB21_526:
	s_branch .LBB21_529
.LBB21_527:
	v_mov_b32_e32 v4, 29
	v_cmp_eq_u16_sdwa s[6:7], v27, v4 src0_sel:BYTE_0 src1_sel:DWORD
	s_mov_b64 s[4:5], -1
	s_and_b64 vcc, exec, s[6:7]
	s_cbranch_vccz .LBB21_529
; %bb.528:
	v_trunc_f32_e32 v4, v24
	v_mul_f32_e32 v5, 0x2f800000, v4
	v_floor_f32_e32 v6, v5
	v_fmac_f32_e32 v4, 0xcf800000, v6
	v_cvt_u32_f32_e32 v5, v6
	v_cvt_u32_f32_e32 v4, v4
	s_mov_b64 s[4:5], 0
	s_mov_b64 s[10:11], -1
	s_mov_b64 s[6:7], 0
	global_store_dwordx2 v[2:3], v[4:5], off
	s_branch .LBB21_530
.LBB21_529:
	s_mov_b64 s[6:7], 0
.LBB21_530:
	s_and_b64 vcc, exec, s[6:7]
	s_cbranch_vccz .LBB21_546
; %bb.531:
	v_mov_b32_e32 v4, 27
	v_cmp_lt_i16_sdwa s[10:11], v27, v4 src0_sel:BYTE_0 src1_sel:DWORD
	s_mov_b64 s[6:7], -1
	s_and_b64 vcc, exec, s[10:11]
	s_cbranch_vccnz .LBB21_537
; %bb.532:
	v_cmp_gt_i16_sdwa s[10:11], v27, v4 src0_sel:BYTE_0 src1_sel:DWORD
	v_cvt_u32_f32_e32 v4, v24
	s_and_b64 vcc, exec, s[10:11]
	s_cbranch_vccz .LBB21_534
; %bb.533:
	s_mov_b64 s[6:7], 0
	global_store_dword v[2:3], v4, off
.LBB21_534:
	s_andn2_b64 vcc, exec, s[6:7]
	s_cbranch_vccnz .LBB21_536
; %bb.535:
	global_store_short v[2:3], v4, off
.LBB21_536:
	s_mov_b64 s[6:7], 0
.LBB21_537:
	s_andn2_b64 vcc, exec, s[6:7]
	s_cbranch_vccnz .LBB21_545
; %bb.538:
	v_and_b32_e32 v4, 0x7fffffff, v24
	s_mov_b32 s6, 0x43800000
	v_cmp_gt_u32_e32 vcc, s6, v4
	v_mov_b32_e32 v5, 0x80
	s_and_saveexec_b64 s[6:7], vcc
	s_cbranch_execz .LBB21_544
; %bb.539:
	s_mov_b32 s10, 0x3bffffff
	v_cmp_lt_u32_e32 vcc, s10, v4
	s_mov_b64 s[10:11], 0
                                        ; implicit-def: $vgpr4
	s_and_saveexec_b64 s[12:13], vcc
	s_xor_b64 s[12:13], exec, s[12:13]
	s_cbranch_execz .LBB21_639
; %bb.540:
	v_bfe_u32 v4, v24, 20, 1
	s_mov_b32 s14, 0x487ffff
	v_add3_u32 v4, v24, v4, s14
	s_mov_b64 s[10:11], exec
	v_lshrrev_b32_e32 v4, 20, v4
	s_or_saveexec_b64 s[12:13], s[12:13]
                                        ; implicit-def: $sgpr14
	s_xor_b64 exec, exec, s[12:13]
	s_cbranch_execnz .LBB21_640
.LBB21_541:
	s_or_b64 exec, exec, s[12:13]
	v_mov_b32_e32 v5, s14
	s_and_saveexec_b64 s[12:13], s[10:11]
.LBB21_542:
	v_lshrrev_b32_e32 v5, 24, v24
	s_movk_i32 s10, 0x80
	v_and_or_b32 v5, v5, s10, v4
.LBB21_543:
	s_or_b64 exec, exec, s[12:13]
.LBB21_544:
	s_or_b64 exec, exec, s[6:7]
	global_store_byte v[2:3], v5, off
.LBB21_545:
	s_mov_b64 s[10:11], -1
.LBB21_546:
	s_mov_b64 s[6:7], 0
.LBB21_547:
	s_and_b64 vcc, exec, s[6:7]
	s_cbranch_vccz .LBB21_587
; %bb.548:
	v_mov_b32_e32 v4, 22
	v_cmp_gt_i16_sdwa s[8:9], v27, v4 src0_sel:BYTE_0 src1_sel:DWORD
	s_mov_b64 s[6:7], -1
	s_and_b64 vcc, exec, s[8:9]
	s_cbranch_vccz .LBB21_580
; %bb.549:
	v_mov_b32_e32 v4, 24
	v_cmp_lt_i16_sdwa s[8:9], v27, v4 src0_sel:BYTE_0 src1_sel:DWORD
	s_and_b64 vcc, exec, s[8:9]
	s_cbranch_vccnz .LBB21_569
; %bb.550:
	v_cmp_gt_i16_sdwa s[8:9], v27, v4 src0_sel:BYTE_0 src1_sel:DWORD
	s_and_b64 vcc, exec, s[8:9]
	s_cbranch_vccz .LBB21_558
; %bb.551:
	v_and_b32_e32 v4, 0x7fffffff, v24
	s_mov_b32 s6, 0x47800000
	v_cmp_gt_u32_e32 vcc, s6, v4
	v_mov_b32_e32 v5, 0x80
	s_and_saveexec_b64 s[6:7], vcc
	s_cbranch_execz .LBB21_557
; %bb.552:
	s_mov_b32 s8, 0x37ffffff
	v_cmp_lt_u32_e32 vcc, s8, v4
	s_mov_b64 s[8:9], 0
                                        ; implicit-def: $vgpr4
	s_and_saveexec_b64 s[10:11], vcc
	s_xor_b64 s[10:11], exec, s[10:11]
	s_cbranch_execz .LBB21_643
; %bb.553:
	v_bfe_u32 v4, v24, 21, 1
	s_mov_b32 s12, 0x88fffff
	v_add3_u32 v4, v24, v4, s12
	s_mov_b64 s[8:9], exec
	v_lshrrev_b32_e32 v4, 21, v4
	s_or_saveexec_b64 s[10:11], s[10:11]
                                        ; implicit-def: $sgpr12
	s_xor_b64 exec, exec, s[10:11]
	s_cbranch_execnz .LBB21_644
.LBB21_554:
	s_or_b64 exec, exec, s[10:11]
	v_mov_b32_e32 v5, s12
	s_and_saveexec_b64 s[10:11], s[8:9]
.LBB21_555:
	v_lshrrev_b32_e32 v5, 24, v24
	s_movk_i32 s8, 0x80
	v_and_or_b32 v5, v5, s8, v4
.LBB21_556:
	s_or_b64 exec, exec, s[10:11]
.LBB21_557:
	s_or_b64 exec, exec, s[6:7]
	s_mov_b64 s[6:7], 0
	global_store_byte v[2:3], v5, off
.LBB21_558:
	s_and_b64 vcc, exec, s[6:7]
	s_cbranch_vccz .LBB21_568
; %bb.559:
	v_and_b32_e32 v5, 0x7fffffff, v24
	s_mov_b32 s6, 0x43f00000
	v_cmp_gt_u32_e32 vcc, s6, v5
                                        ; implicit-def: $vgpr4
	s_and_saveexec_b64 s[6:7], vcc
	s_xor_b64 s[6:7], exec, s[6:7]
	s_cbranch_execz .LBB21_565
; %bb.560:
	s_mov_b32 s8, 0x3c7fffff
	v_cmp_lt_u32_e32 vcc, s8, v5
                                        ; implicit-def: $vgpr4
	s_and_saveexec_b64 s[8:9], vcc
	s_xor_b64 s[8:9], exec, s[8:9]
; %bb.561:
	v_bfe_u32 v4, v24, 20, 1
	s_mov_b32 s10, 0x407ffff
	v_add3_u32 v4, v24, v4, s10
	v_lshrrev_b32_e32 v5, 20, v4
	v_and_b32_e32 v4, 0xff00000, v4
	s_mov_b32 s10, 0x7f00000
	v_mov_b32_e32 v6, 0x7e
	v_cmp_ne_u32_e32 vcc, s10, v4
	v_cndmask_b32_e32 v4, v6, v5, vcc
; %bb.562:
	s_andn2_saveexec_b64 s[8:9], s[8:9]
; %bb.563:
	s_mov_b32 s10, 0x46800000
	v_add_f32_e64 v4, |v24|, s10
; %bb.564:
	s_or_b64 exec, exec, s[8:9]
                                        ; implicit-def: $vgpr5
.LBB21_565:
	s_andn2_saveexec_b64 s[6:7], s[6:7]
; %bb.566:
	s_mov_b32 s8, 0x7f800000
	v_mov_b32_e32 v4, 0x7e
	v_mov_b32_e32 v6, 0x7f
	v_cmp_lt_u32_e32 vcc, s8, v5
	v_cndmask_b32_e32 v4, v4, v6, vcc
; %bb.567:
	s_or_b64 exec, exec, s[6:7]
	v_lshrrev_b32_e32 v5, 24, v24
	s_movk_i32 s6, 0x80
	v_and_or_b32 v4, v5, s6, v4
	global_store_byte v[2:3], v4, off
.LBB21_568:
	s_mov_b64 s[6:7], 0
.LBB21_569:
	s_andn2_b64 vcc, exec, s[6:7]
	s_cbranch_vccnz .LBB21_579
; %bb.570:
	v_and_b32_e32 v5, 0x7fffffff, v24
	s_mov_b32 s6, 0x47800000
	v_cmp_gt_u32_e32 vcc, s6, v5
                                        ; implicit-def: $vgpr4
	s_and_saveexec_b64 s[6:7], vcc
	s_xor_b64 s[6:7], exec, s[6:7]
	s_cbranch_execz .LBB21_576
; %bb.571:
	s_mov_b32 s8, 0x387fffff
	v_cmp_lt_u32_e32 vcc, s8, v5
                                        ; implicit-def: $vgpr4
	s_and_saveexec_b64 s[8:9], vcc
	s_xor_b64 s[8:9], exec, s[8:9]
; %bb.572:
	v_bfe_u32 v4, v24, 21, 1
	s_mov_b32 s10, 0x80fffff
	v_add3_u32 v4, v24, v4, s10
	v_lshrrev_b32_e32 v4, 21, v4
; %bb.573:
	s_andn2_saveexec_b64 s[8:9], s[8:9]
; %bb.574:
	s_mov_b32 s10, 0x43000000
	v_add_f32_e64 v4, |v24|, s10
; %bb.575:
	s_or_b64 exec, exec, s[8:9]
                                        ; implicit-def: $vgpr5
.LBB21_576:
	s_andn2_saveexec_b64 s[6:7], s[6:7]
; %bb.577:
	s_mov_b32 s8, 0x7f800000
	v_mov_b32_e32 v4, 0x7c
	v_mov_b32_e32 v6, 0x7f
	v_cmp_lt_u32_e32 vcc, s8, v5
	v_cndmask_b32_e32 v4, v4, v6, vcc
; %bb.578:
	s_or_b64 exec, exec, s[6:7]
	v_lshrrev_b32_e32 v5, 24, v24
	s_movk_i32 s6, 0x80
	v_and_or_b32 v4, v5, s6, v4
	global_store_byte v[2:3], v4, off
.LBB21_579:
	s_mov_b64 s[6:7], 0
	s_mov_b64 s[10:11], -1
.LBB21_580:
	s_andn2_b64 vcc, exec, s[6:7]
	s_mov_b64 s[8:9], 0
	s_cbranch_vccnz .LBB21_587
; %bb.581:
	v_mov_b32_e32 v4, 14
	v_cmp_gt_i16_sdwa s[8:9], v27, v4 src0_sel:BYTE_0 src1_sel:DWORD
	s_mov_b64 s[6:7], -1
	s_and_b64 vcc, exec, s[8:9]
	s_cbranch_vccz .LBB21_585
; %bb.582:
	v_mov_b32_e32 v4, 15
	v_cmp_eq_u16_sdwa s[6:7], v27, v4 src0_sel:BYTE_0 src1_sel:DWORD
	s_mov_b64 s[4:5], -1
	s_and_b64 vcc, exec, s[6:7]
	s_cbranch_vccz .LBB21_584
; %bb.583:
	v_bfe_u32 v4, v24, 16, 1
	s_movk_i32 s4, 0x7fff
	v_add3_u32 v4, v24, v4, s4
	v_lshrrev_b32_e32 v4, 16, v4
	v_mov_b32_e32 v5, 0x7fc0
	v_cmp_o_f32_e32 vcc, v24, v24
	v_cndmask_b32_e32 v4, v5, v4, vcc
	global_store_short v[2:3], v4, off
	s_mov_b64 s[4:5], 0
	s_mov_b64 s[10:11], -1
.LBB21_584:
	s_mov_b64 s[6:7], 0
.LBB21_585:
	s_mov_b64 s[8:9], 0
	s_and_b64 vcc, exec, s[6:7]
	s_cbranch_vccz .LBB21_587
; %bb.586:
	v_mov_b32_e32 v4, 11
	v_cmp_ne_u16_sdwa s[4:5], v27, v4 src0_sel:BYTE_0 src1_sel:DWORD
	s_mov_b64 s[8:9], -1
.LBB21_587:
	s_and_b64 vcc, exec, s[4:5]
	s_mov_b64 s[6:7], s[42:43]
	s_cbranch_vccnz .LBB21_642
; %bb.588:
	s_andn2_b64 vcc, exec, s[8:9]
	s_cbranch_vccnz .LBB21_590
.LBB21_589:
	v_cmp_neq_f32_e32 vcc, 0, v24
	v_cndmask_b32_e64 v4, 0, 1, vcc
	global_store_byte v[2:3], v4, off
	s_mov_b64 s[10:11], -1
.LBB21_590:
	s_branch .LBB21_517
.LBB21_591:
	v_mov_b32_e32 v4, 5
	v_cmp_lt_i16_sdwa s[8:9], v27, v4 src0_sel:BYTE_0 src1_sel:DWORD
	s_mov_b64 s[4:5], -1
	s_and_b64 vcc, exec, s[8:9]
	s_cbranch_vccnz .LBB21_612
; %bb.592:
	v_mov_b32_e32 v4, 8
	v_cmp_lt_i16_sdwa s[8:9], v27, v4 src0_sel:BYTE_0 src1_sel:DWORD
	s_and_b64 vcc, exec, s[8:9]
	s_cbranch_vccnz .LBB21_602
; %bb.593:
	v_mov_b32_e32 v4, 9
	v_cmp_lt_i16_sdwa s[8:9], v27, v4 src0_sel:BYTE_0 src1_sel:DWORD
	s_and_b64 vcc, exec, s[8:9]
	s_cbranch_vccnz .LBB21_599
; %bb.594:
	v_cmp_gt_i16_sdwa s[8:9], v27, v4 src0_sel:BYTE_0 src1_sel:DWORD
	s_and_b64 vcc, exec, s[8:9]
	s_cbranch_vccz .LBB21_596
; %bb.595:
	v_mov_b32_e32 v6, 0
	v_cvt_f64_f32_e32 v[4:5], v24
	v_mov_b32_e32 v7, v6
	global_store_dwordx4 v[2:3], v[4:7], off
	s_mov_b64 s[4:5], 0
.LBB21_596:
	s_andn2_b64 vcc, exec, s[4:5]
	s_cbranch_vccnz .LBB21_598
; %bb.597:
	v_mov_b32_e32 v25, 0
	global_store_dwordx2 v[2:3], v[24:25], off
.LBB21_598:
	s_mov_b64 s[4:5], 0
.LBB21_599:
	s_andn2_b64 vcc, exec, s[4:5]
	s_cbranch_vccnz .LBB21_601
; %bb.600:
	v_cvt_f16_f32_e32 v4, v24
	global_store_dword v[2:3], v4, off
.LBB21_601:
	s_mov_b64 s[4:5], 0
.LBB21_602:
	s_andn2_b64 vcc, exec, s[4:5]
	s_cbranch_vccnz .LBB21_611
; %bb.603:
	v_mov_b32_e32 v4, 6
	v_cmp_lt_i16_sdwa s[8:9], v27, v4 src0_sel:BYTE_0 src1_sel:DWORD
	s_mov_b64 s[4:5], -1
	s_and_b64 vcc, exec, s[8:9]
	s_cbranch_vccnz .LBB21_609
; %bb.604:
	v_cmp_gt_i16_sdwa s[8:9], v27, v4 src0_sel:BYTE_0 src1_sel:DWORD
	s_and_b64 vcc, exec, s[8:9]
	s_cbranch_vccz .LBB21_606
; %bb.605:
	v_cvt_f64_f32_e32 v[4:5], v24
	global_store_dwordx2 v[2:3], v[4:5], off
	s_mov_b64 s[4:5], 0
.LBB21_606:
	s_andn2_b64 vcc, exec, s[4:5]
	s_cbranch_vccnz .LBB21_608
; %bb.607:
	global_store_dword v[2:3], v24, off
.LBB21_608:
	s_mov_b64 s[4:5], 0
.LBB21_609:
	s_andn2_b64 vcc, exec, s[4:5]
	s_cbranch_vccnz .LBB21_611
; %bb.610:
	v_cvt_f16_f32_e32 v4, v24
	global_store_short v[2:3], v4, off
.LBB21_611:
	s_mov_b64 s[4:5], 0
.LBB21_612:
	s_andn2_b64 vcc, exec, s[4:5]
	s_cbranch_vccnz .LBB21_628
; %bb.613:
	v_mov_b32_e32 v4, 2
	v_cmp_lt_i16_sdwa s[8:9], v27, v4 src0_sel:BYTE_0 src1_sel:DWORD
	s_mov_b64 s[4:5], -1
	s_and_b64 vcc, exec, s[8:9]
	s_cbranch_vccnz .LBB21_623
; %bb.614:
	v_mov_b32_e32 v4, 3
	v_cmp_lt_i16_sdwa s[8:9], v27, v4 src0_sel:BYTE_0 src1_sel:DWORD
	s_and_b64 vcc, exec, s[8:9]
	s_cbranch_vccnz .LBB21_620
; %bb.615:
	v_cmp_gt_i16_sdwa s[8:9], v27, v4 src0_sel:BYTE_0 src1_sel:DWORD
	s_and_b64 vcc, exec, s[8:9]
	s_cbranch_vccz .LBB21_617
; %bb.616:
	v_trunc_f32_e32 v4, v24
	s_mov_b32 s4, 0x2f800000
	v_mul_f32_e64 v5, |v4|, s4
	v_floor_f32_e32 v5, v5
	s_mov_b32 s4, 0xcf800000
	v_cvt_u32_f32_e32 v6, v5
	v_fma_f32 v5, v5, s4, |v4|
	v_cvt_u32_f32_e32 v5, v5
	v_ashrrev_i32_e32 v7, 31, v4
	v_xor_b32_e32 v6, v6, v7
	s_mov_b64 s[4:5], 0
	v_xor_b32_e32 v4, v5, v7
	v_sub_co_u32_e32 v4, vcc, v4, v7
	v_subb_co_u32_e32 v5, vcc, v6, v7, vcc
	global_store_dwordx2 v[2:3], v[4:5], off
.LBB21_617:
	s_andn2_b64 vcc, exec, s[4:5]
	s_cbranch_vccnz .LBB21_619
; %bb.618:
	v_cvt_i32_f32_e32 v4, v24
	global_store_dword v[2:3], v4, off
.LBB21_619:
	s_mov_b64 s[4:5], 0
.LBB21_620:
	s_andn2_b64 vcc, exec, s[4:5]
	s_cbranch_vccnz .LBB21_622
; %bb.621:
	v_cvt_i32_f32_e32 v4, v24
	global_store_short v[2:3], v4, off
.LBB21_622:
	s_mov_b64 s[4:5], 0
.LBB21_623:
	s_andn2_b64 vcc, exec, s[4:5]
	s_cbranch_vccnz .LBB21_628
; %bb.624:
	v_mov_b32_e32 v4, 0
	v_cmp_gt_i16_sdwa s[8:9], v27, v4 src0_sel:BYTE_0 src1_sel:DWORD
	s_mov_b64 s[4:5], -1
	s_and_b64 vcc, exec, s[8:9]
	s_cbranch_vccz .LBB21_626
; %bb.625:
	v_cvt_i32_f32_e32 v4, v24
	s_mov_b64 s[4:5], 0
	global_store_byte v[2:3], v4, off
.LBB21_626:
	s_andn2_b64 vcc, exec, s[4:5]
	s_cbranch_vccnz .LBB21_628
; %bb.627:
	v_trunc_f32_e32 v4, v24
	s_mov_b32 s4, 0x2f800000
	v_mul_f32_e64 v5, |v4|, s4
	v_floor_f32_e32 v5, v5
	s_mov_b32 s4, 0xcf800000
	v_fma_f32 v5, v5, s4, |v4|
	v_cvt_u32_f32_e32 v5, v5
	v_ashrrev_i32_e32 v4, 31, v4
	v_xor_b32_e32 v5, v5, v4
	v_sub_u32_e32 v4, v5, v4
	global_store_byte v[2:3], v4, off
.LBB21_628:
.LBB21_629:
	s_lshl_b32 s16, s28, 7
	v_add_u32_e32 v1, s16, v1
	v_ashrrev_i32_e32 v3, 31, v1
	v_mov_b32_e32 v4, s37
	v_add_co_u32_e32 v2, vcc, s36, v1
	v_addc_co_u32_e32 v3, vcc, v4, v3, vcc
	v_mov_b32_e32 v4, 11
	v_cmp_lt_i16_sdwa s[4:5], v27, v4 src0_sel:BYTE_0 src1_sel:DWORD
	s_and_b64 vcc, exec, s[4:5]
	s_cbranch_vccnz .LBB21_636
; %bb.630:
	v_mov_b32_e32 v4, 25
	v_cmp_gt_i16_sdwa s[4:5], v27, v4 src0_sel:BYTE_0 src1_sel:DWORD
	s_mov_b64 s[12:13], -1
	s_mov_b64 s[8:9], 0
	s_and_b64 vcc, exec, s[4:5]
	s_mov_b64 s[10:11], 0
	s_mov_b64 s[4:5], 0
	s_cbranch_vccz .LBB21_673
; %bb.631:
	v_mov_b32_e32 v4, 28
	v_cmp_gt_i16_sdwa s[4:5], v27, v4 src0_sel:BYTE_0 src1_sel:DWORD
	s_and_b64 vcc, exec, s[4:5]
	s_cbranch_vccz .LBB21_638
; %bb.632:
	v_mov_b32_e32 v4, 43
	v_cmp_gt_i16_sdwa s[4:5], v27, v4 src0_sel:BYTE_0 src1_sel:DWORD
	s_and_b64 vcc, exec, s[4:5]
	;; [unrolled: 5-line block ×3, first 2 shown]
	s_cbranch_vccz .LBB21_645
; %bb.634:
	v_mov_b32_e32 v4, 46
	v_cmp_eq_u16_sdwa s[10:11], v27, v4 src0_sel:BYTE_0 src1_sel:DWORD
	s_mov_b64 s[4:5], -1
	s_mov_b64 s[12:13], 0
	s_and_b64 vcc, exec, s[10:11]
	s_mov_b64 s[10:11], 0
	s_cbranch_vccz .LBB21_646
; %bb.635:
	v_bfe_u32 v4, v22, 16, 1
	s_movk_i32 s4, 0x7fff
	v_add3_u32 v4, v22, v4, s4
	v_lshrrev_b32_e32 v4, 16, v4
	v_mov_b32_e32 v5, 0x7fc0
	v_cmp_o_f32_e32 vcc, v22, v22
	v_cndmask_b32_e32 v4, v5, v4, vcc
	global_store_dword v[2:3], v4, off
	s_mov_b64 s[4:5], 0
	s_mov_b64 s[10:11], -1
	s_branch .LBB21_646
.LBB21_636:
	s_mov_b64 s[10:11], 0
	s_cbranch_execnz .LBB21_717
.LBB21_637:
	s_andn2_b64 vcc, exec, s[10:11]
	s_cbranch_vccz .LBB21_755
	s_branch .LBB21_958
.LBB21_638:
	s_mov_b64 s[4:5], 0
	s_branch .LBB21_656
.LBB21_639:
	s_or_saveexec_b64 s[12:13], s[12:13]
                                        ; implicit-def: $sgpr14
	s_xor_b64 exec, exec, s[12:13]
	s_cbranch_execz .LBB21_541
.LBB21_640:
	s_mov_b32 s14, 0x46000000
	v_add_f32_e64 v4, |v24|, s14
	v_and_b32_e32 v4, 0xff, v4
	v_cmp_ne_u32_e32 vcc, 0, v4
	s_andn2_b64 s[10:11], s[10:11], exec
	s_and_b64 s[16:17], vcc, exec
	s_mov_b32 s14, 0
	s_or_b64 s[10:11], s[10:11], s[16:17]
	s_or_b64 exec, exec, s[12:13]
	v_mov_b32_e32 v5, s14
	s_and_saveexec_b64 s[12:13], s[10:11]
	s_cbranch_execnz .LBB21_542
	s_branch .LBB21_543
.LBB21_641:
	s_mov_b64 s[4:5], 0
	s_branch .LBB21_652
.LBB21_642:
	s_or_b64 s[6:7], s[42:43], exec
	s_trap 2
	s_cbranch_execz .LBB21_589
	s_branch .LBB21_590
.LBB21_643:
	s_or_saveexec_b64 s[10:11], s[10:11]
                                        ; implicit-def: $sgpr12
	s_xor_b64 exec, exec, s[10:11]
	s_cbranch_execz .LBB21_554
.LBB21_644:
	s_mov_b32 s12, 0x42800000
	v_add_f32_e64 v4, |v24|, s12
	v_and_b32_e32 v4, 0xff, v4
	v_cmp_ne_u32_e32 vcc, 0, v4
	s_andn2_b64 s[8:9], s[8:9], exec
	s_and_b64 s[14:15], vcc, exec
	s_mov_b32 s12, 0
	s_or_b64 s[8:9], s[8:9], s[14:15]
	s_or_b64 exec, exec, s[10:11]
	v_mov_b32_e32 v5, s12
	s_and_saveexec_b64 s[10:11], s[8:9]
	s_cbranch_execnz .LBB21_555
	s_branch .LBB21_556
.LBB21_645:
	s_mov_b64 s[4:5], 0
.LBB21_646:
	s_and_b64 vcc, exec, s[12:13]
	s_cbranch_vccz .LBB21_651
; %bb.647:
	v_mov_b32_e32 v4, 44
	v_cmp_eq_u16_sdwa s[12:13], v27, v4 src0_sel:BYTE_0 src1_sel:DWORD
	s_mov_b64 s[4:5], -1
	s_and_b64 vcc, exec, s[12:13]
	s_cbranch_vccz .LBB21_651
; %bb.648:
	v_bfe_u32 v4, v22, 23, 8
	s_movk_i32 s4, 0xff
	v_cmp_ne_u32_e32 vcc, s4, v4
	v_mov_b32_e32 v5, 0xff
	s_and_saveexec_b64 s[10:11], vcc
; %bb.649:
	s_mov_b32 s4, 0x3fffff
	v_and_b32_e32 v6, 0x400000, v22
	v_and_or_b32 v4, v22, s4, v4
	v_cmp_ne_u32_e32 vcc, 0, v6
	v_cmp_ne_u32_e64 s[4:5], 0, v4
	s_and_b64 s[4:5], vcc, s[4:5]
	v_lshrrev_b32_e32 v5, 23, v22
	v_cndmask_b32_e64 v4, 0, 1, s[4:5]
	v_add_u32_e32 v5, v5, v4
; %bb.650:
	s_or_b64 exec, exec, s[10:11]
	s_mov_b64 s[4:5], 0
	s_mov_b64 s[10:11], -1
	global_store_byte v[2:3], v5, off
.LBB21_651:
	s_mov_b64 s[12:13], 0
.LBB21_652:
	s_and_b64 vcc, exec, s[12:13]
	s_cbranch_vccz .LBB21_655
; %bb.653:
	v_mov_b32_e32 v4, 29
	v_cmp_eq_u16_sdwa s[12:13], v27, v4 src0_sel:BYTE_0 src1_sel:DWORD
	s_mov_b64 s[4:5], -1
	s_and_b64 vcc, exec, s[12:13]
	s_cbranch_vccz .LBB21_655
; %bb.654:
	v_trunc_f32_e32 v4, v22
	v_mul_f32_e32 v5, 0x2f800000, v4
	v_floor_f32_e32 v6, v5
	v_fmac_f32_e32 v4, 0xcf800000, v6
	v_cvt_u32_f32_e32 v5, v6
	v_cvt_u32_f32_e32 v4, v4
	s_mov_b64 s[4:5], 0
	s_mov_b64 s[10:11], -1
	s_mov_b64 s[12:13], 0
	global_store_dwordx2 v[2:3], v[4:5], off
	s_branch .LBB21_656
.LBB21_655:
	s_mov_b64 s[12:13], 0
.LBB21_656:
	s_and_b64 vcc, exec, s[12:13]
	s_cbranch_vccz .LBB21_672
; %bb.657:
	v_mov_b32_e32 v4, 27
	v_cmp_lt_i16_sdwa s[12:13], v27, v4 src0_sel:BYTE_0 src1_sel:DWORD
	s_mov_b64 s[10:11], -1
	s_and_b64 vcc, exec, s[12:13]
	s_cbranch_vccnz .LBB21_663
; %bb.658:
	v_cmp_gt_i16_sdwa s[12:13], v27, v4 src0_sel:BYTE_0 src1_sel:DWORD
	v_cvt_u32_f32_e32 v4, v22
	s_and_b64 vcc, exec, s[12:13]
	s_cbranch_vccz .LBB21_660
; %bb.659:
	s_mov_b64 s[10:11], 0
	global_store_dword v[2:3], v4, off
.LBB21_660:
	s_andn2_b64 vcc, exec, s[10:11]
	s_cbranch_vccnz .LBB21_662
; %bb.661:
	global_store_short v[2:3], v4, off
.LBB21_662:
	s_mov_b64 s[10:11], 0
.LBB21_663:
	s_andn2_b64 vcc, exec, s[10:11]
	s_cbranch_vccnz .LBB21_671
; %bb.664:
	v_and_b32_e32 v4, 0x7fffffff, v22
	s_mov_b32 s10, 0x43800000
	v_cmp_gt_u32_e32 vcc, s10, v4
	v_mov_b32_e32 v5, 0x80
	s_and_saveexec_b64 s[10:11], vcc
	s_cbranch_execz .LBB21_670
; %bb.665:
	s_mov_b32 s12, 0x3bffffff
	v_cmp_lt_u32_e32 vcc, s12, v4
	s_mov_b64 s[12:13], 0
                                        ; implicit-def: $vgpr4
	s_and_saveexec_b64 s[14:15], vcc
	s_xor_b64 s[14:15], exec, s[14:15]
	s_cbranch_execz .LBB21_842
; %bb.666:
	v_bfe_u32 v4, v22, 20, 1
	s_mov_b32 s17, 0x487ffff
	v_add3_u32 v4, v22, v4, s17
	s_mov_b64 s[12:13], exec
	v_lshrrev_b32_e32 v4, 20, v4
	s_or_saveexec_b64 s[14:15], s[14:15]
                                        ; implicit-def: $sgpr17
	s_xor_b64 exec, exec, s[14:15]
	s_cbranch_execnz .LBB21_843
.LBB21_667:
	s_or_b64 exec, exec, s[14:15]
	v_mov_b32_e32 v5, s17
	s_and_saveexec_b64 s[14:15], s[12:13]
.LBB21_668:
	v_lshrrev_b32_e32 v5, 24, v22
	s_movk_i32 s12, 0x80
	v_and_or_b32 v5, v5, s12, v4
.LBB21_669:
	s_or_b64 exec, exec, s[14:15]
.LBB21_670:
	s_or_b64 exec, exec, s[10:11]
	global_store_byte v[2:3], v5, off
.LBB21_671:
	s_mov_b64 s[10:11], -1
.LBB21_672:
	s_mov_b64 s[12:13], 0
.LBB21_673:
	s_and_b64 vcc, exec, s[12:13]
	s_cbranch_vccz .LBB21_713
; %bb.674:
	v_mov_b32_e32 v4, 22
	v_cmp_gt_i16_sdwa s[12:13], v27, v4 src0_sel:BYTE_0 src1_sel:DWORD
	s_mov_b64 s[8:9], -1
	s_and_b64 vcc, exec, s[12:13]
	s_cbranch_vccz .LBB21_706
; %bb.675:
	v_mov_b32_e32 v4, 24
	v_cmp_lt_i16_sdwa s[10:11], v27, v4 src0_sel:BYTE_0 src1_sel:DWORD
	s_and_b64 vcc, exec, s[10:11]
	s_cbranch_vccnz .LBB21_695
; %bb.676:
	v_cmp_gt_i16_sdwa s[10:11], v27, v4 src0_sel:BYTE_0 src1_sel:DWORD
	s_and_b64 vcc, exec, s[10:11]
	s_cbranch_vccz .LBB21_684
; %bb.677:
	v_and_b32_e32 v4, 0x7fffffff, v22
	s_mov_b32 s8, 0x47800000
	v_cmp_gt_u32_e32 vcc, s8, v4
	v_mov_b32_e32 v5, 0x80
	s_and_saveexec_b64 s[8:9], vcc
	s_cbranch_execz .LBB21_683
; %bb.678:
	s_mov_b32 s10, 0x37ffffff
	v_cmp_lt_u32_e32 vcc, s10, v4
	s_mov_b64 s[10:11], 0
                                        ; implicit-def: $vgpr4
	s_and_saveexec_b64 s[12:13], vcc
	s_xor_b64 s[12:13], exec, s[12:13]
	s_cbranch_execz .LBB21_846
; %bb.679:
	v_bfe_u32 v4, v22, 21, 1
	s_mov_b32 s14, 0x88fffff
	v_add3_u32 v4, v22, v4, s14
	s_mov_b64 s[10:11], exec
	v_lshrrev_b32_e32 v4, 21, v4
	s_or_saveexec_b64 s[12:13], s[12:13]
                                        ; implicit-def: $sgpr14
	s_xor_b64 exec, exec, s[12:13]
	s_cbranch_execnz .LBB21_847
.LBB21_680:
	s_or_b64 exec, exec, s[12:13]
	v_mov_b32_e32 v5, s14
	s_and_saveexec_b64 s[12:13], s[10:11]
.LBB21_681:
	v_lshrrev_b32_e32 v5, 24, v22
	s_movk_i32 s10, 0x80
	v_and_or_b32 v5, v5, s10, v4
.LBB21_682:
	s_or_b64 exec, exec, s[12:13]
.LBB21_683:
	s_or_b64 exec, exec, s[8:9]
	s_mov_b64 s[8:9], 0
	global_store_byte v[2:3], v5, off
.LBB21_684:
	s_and_b64 vcc, exec, s[8:9]
	s_cbranch_vccz .LBB21_694
; %bb.685:
	v_and_b32_e32 v5, 0x7fffffff, v22
	s_mov_b32 s8, 0x43f00000
	v_cmp_gt_u32_e32 vcc, s8, v5
                                        ; implicit-def: $vgpr4
	s_and_saveexec_b64 s[8:9], vcc
	s_xor_b64 s[8:9], exec, s[8:9]
	s_cbranch_execz .LBB21_691
; %bb.686:
	s_mov_b32 s10, 0x3c7fffff
	v_cmp_lt_u32_e32 vcc, s10, v5
                                        ; implicit-def: $vgpr4
	s_and_saveexec_b64 s[10:11], vcc
	s_xor_b64 s[10:11], exec, s[10:11]
; %bb.687:
	v_bfe_u32 v4, v22, 20, 1
	s_mov_b32 s12, 0x407ffff
	v_add3_u32 v4, v22, v4, s12
	v_lshrrev_b32_e32 v5, 20, v4
	v_and_b32_e32 v4, 0xff00000, v4
	s_mov_b32 s12, 0x7f00000
	v_mov_b32_e32 v6, 0x7e
	v_cmp_ne_u32_e32 vcc, s12, v4
	v_cndmask_b32_e32 v4, v6, v5, vcc
; %bb.688:
	s_andn2_saveexec_b64 s[10:11], s[10:11]
; %bb.689:
	s_mov_b32 s12, 0x46800000
	v_add_f32_e64 v4, |v22|, s12
; %bb.690:
	s_or_b64 exec, exec, s[10:11]
                                        ; implicit-def: $vgpr5
.LBB21_691:
	s_andn2_saveexec_b64 s[8:9], s[8:9]
; %bb.692:
	s_mov_b32 s10, 0x7f800000
	v_mov_b32_e32 v4, 0x7e
	v_mov_b32_e32 v6, 0x7f
	v_cmp_lt_u32_e32 vcc, s10, v5
	v_cndmask_b32_e32 v4, v4, v6, vcc
; %bb.693:
	s_or_b64 exec, exec, s[8:9]
	v_lshrrev_b32_e32 v5, 24, v22
	s_movk_i32 s8, 0x80
	v_and_or_b32 v4, v5, s8, v4
	global_store_byte v[2:3], v4, off
.LBB21_694:
	s_mov_b64 s[8:9], 0
.LBB21_695:
	s_andn2_b64 vcc, exec, s[8:9]
	s_cbranch_vccnz .LBB21_705
; %bb.696:
	v_and_b32_e32 v5, 0x7fffffff, v22
	s_mov_b32 s8, 0x47800000
	v_cmp_gt_u32_e32 vcc, s8, v5
                                        ; implicit-def: $vgpr4
	s_and_saveexec_b64 s[8:9], vcc
	s_xor_b64 s[8:9], exec, s[8:9]
	s_cbranch_execz .LBB21_702
; %bb.697:
	s_mov_b32 s10, 0x387fffff
	v_cmp_lt_u32_e32 vcc, s10, v5
                                        ; implicit-def: $vgpr4
	s_and_saveexec_b64 s[10:11], vcc
	s_xor_b64 s[10:11], exec, s[10:11]
; %bb.698:
	v_bfe_u32 v4, v22, 21, 1
	s_mov_b32 s12, 0x80fffff
	v_add3_u32 v4, v22, v4, s12
	v_lshrrev_b32_e32 v4, 21, v4
; %bb.699:
	s_andn2_saveexec_b64 s[10:11], s[10:11]
; %bb.700:
	s_mov_b32 s12, 0x43000000
	v_add_f32_e64 v4, |v22|, s12
; %bb.701:
	s_or_b64 exec, exec, s[10:11]
                                        ; implicit-def: $vgpr5
.LBB21_702:
	s_andn2_saveexec_b64 s[8:9], s[8:9]
; %bb.703:
	s_mov_b32 s10, 0x7f800000
	v_mov_b32_e32 v4, 0x7c
	v_mov_b32_e32 v6, 0x7f
	v_cmp_lt_u32_e32 vcc, s10, v5
	v_cndmask_b32_e32 v4, v4, v6, vcc
; %bb.704:
	s_or_b64 exec, exec, s[8:9]
	v_lshrrev_b32_e32 v5, 24, v22
	s_movk_i32 s8, 0x80
	v_and_or_b32 v4, v5, s8, v4
	global_store_byte v[2:3], v4, off
.LBB21_705:
	s_mov_b64 s[8:9], 0
	s_mov_b64 s[10:11], -1
.LBB21_706:
	s_andn2_b64 vcc, exec, s[8:9]
	s_mov_b64 s[8:9], 0
	s_cbranch_vccnz .LBB21_713
; %bb.707:
	v_mov_b32_e32 v4, 14
	v_cmp_gt_i16_sdwa s[8:9], v27, v4 src0_sel:BYTE_0 src1_sel:DWORD
	s_mov_b64 s[12:13], -1
	s_and_b64 vcc, exec, s[8:9]
	s_cbranch_vccz .LBB21_711
; %bb.708:
	v_mov_b32_e32 v4, 15
	v_cmp_eq_u16_sdwa s[8:9], v27, v4 src0_sel:BYTE_0 src1_sel:DWORD
	s_mov_b64 s[4:5], -1
	s_and_b64 vcc, exec, s[8:9]
	s_cbranch_vccz .LBB21_710
; %bb.709:
	v_bfe_u32 v4, v22, 16, 1
	s_movk_i32 s4, 0x7fff
	v_add3_u32 v4, v22, v4, s4
	v_lshrrev_b32_e32 v4, 16, v4
	v_mov_b32_e32 v5, 0x7fc0
	v_cmp_o_f32_e32 vcc, v22, v22
	v_cndmask_b32_e32 v4, v5, v4, vcc
	global_store_short v[2:3], v4, off
	s_mov_b64 s[4:5], 0
	s_mov_b64 s[10:11], -1
.LBB21_710:
	s_mov_b64 s[12:13], 0
.LBB21_711:
	s_mov_b64 s[8:9], 0
	s_and_b64 vcc, exec, s[12:13]
	s_cbranch_vccz .LBB21_713
; %bb.712:
	v_mov_b32_e32 v4, 11
	v_cmp_ne_u16_sdwa s[4:5], v27, v4 src0_sel:BYTE_0 src1_sel:DWORD
	s_mov_b64 s[8:9], -1
.LBB21_713:
	s_and_b64 vcc, exec, s[4:5]
	s_cbranch_vccnz .LBB21_845
; %bb.714:
	s_andn2_b64 vcc, exec, s[8:9]
	s_cbranch_vccnz .LBB21_716
.LBB21_715:
	v_cmp_neq_f32_e32 vcc, 0, v22
	v_cndmask_b32_e64 v4, 0, 1, vcc
	s_mov_b64 s[10:11], -1
	global_store_byte v[2:3], v4, off
.LBB21_716:
	s_branch .LBB21_637
.LBB21_717:
	v_mov_b32_e32 v4, 5
	v_cmp_lt_i16_sdwa s[8:9], v27, v4 src0_sel:BYTE_0 src1_sel:DWORD
	s_mov_b64 s[4:5], -1
	s_and_b64 vcc, exec, s[8:9]
	s_cbranch_vccnz .LBB21_738
; %bb.718:
	v_mov_b32_e32 v4, 8
	v_cmp_lt_i16_sdwa s[8:9], v27, v4 src0_sel:BYTE_0 src1_sel:DWORD
	s_and_b64 vcc, exec, s[8:9]
	s_cbranch_vccnz .LBB21_728
; %bb.719:
	v_mov_b32_e32 v4, 9
	v_cmp_lt_i16_sdwa s[8:9], v27, v4 src0_sel:BYTE_0 src1_sel:DWORD
	s_and_b64 vcc, exec, s[8:9]
	s_cbranch_vccnz .LBB21_725
; %bb.720:
	v_cmp_gt_i16_sdwa s[8:9], v27, v4 src0_sel:BYTE_0 src1_sel:DWORD
	s_and_b64 vcc, exec, s[8:9]
	s_cbranch_vccz .LBB21_722
; %bb.721:
	v_mov_b32_e32 v6, 0
	v_cvt_f64_f32_e32 v[4:5], v22
	v_mov_b32_e32 v7, v6
	global_store_dwordx4 v[2:3], v[4:7], off
	s_mov_b64 s[4:5], 0
.LBB21_722:
	s_andn2_b64 vcc, exec, s[4:5]
	s_cbranch_vccnz .LBB21_724
; %bb.723:
	v_mov_b32_e32 v23, 0
	global_store_dwordx2 v[2:3], v[22:23], off
.LBB21_724:
	s_mov_b64 s[4:5], 0
.LBB21_725:
	s_andn2_b64 vcc, exec, s[4:5]
	s_cbranch_vccnz .LBB21_727
; %bb.726:
	v_cvt_f16_f32_e32 v4, v22
	global_store_dword v[2:3], v4, off
.LBB21_727:
	s_mov_b64 s[4:5], 0
.LBB21_728:
	s_andn2_b64 vcc, exec, s[4:5]
	s_cbranch_vccnz .LBB21_737
; %bb.729:
	v_mov_b32_e32 v4, 6
	v_cmp_lt_i16_sdwa s[8:9], v27, v4 src0_sel:BYTE_0 src1_sel:DWORD
	s_mov_b64 s[4:5], -1
	s_and_b64 vcc, exec, s[8:9]
	s_cbranch_vccnz .LBB21_735
; %bb.730:
	v_cmp_gt_i16_sdwa s[8:9], v27, v4 src0_sel:BYTE_0 src1_sel:DWORD
	s_and_b64 vcc, exec, s[8:9]
	s_cbranch_vccz .LBB21_732
; %bb.731:
	v_cvt_f64_f32_e32 v[4:5], v22
	global_store_dwordx2 v[2:3], v[4:5], off
	s_mov_b64 s[4:5], 0
.LBB21_732:
	s_andn2_b64 vcc, exec, s[4:5]
	s_cbranch_vccnz .LBB21_734
; %bb.733:
	global_store_dword v[2:3], v22, off
.LBB21_734:
	s_mov_b64 s[4:5], 0
.LBB21_735:
	s_andn2_b64 vcc, exec, s[4:5]
	s_cbranch_vccnz .LBB21_737
; %bb.736:
	v_cvt_f16_f32_e32 v4, v22
	global_store_short v[2:3], v4, off
.LBB21_737:
	s_mov_b64 s[4:5], 0
.LBB21_738:
	s_andn2_b64 vcc, exec, s[4:5]
	s_cbranch_vccnz .LBB21_754
; %bb.739:
	v_mov_b32_e32 v4, 2
	v_cmp_lt_i16_sdwa s[8:9], v27, v4 src0_sel:BYTE_0 src1_sel:DWORD
	s_mov_b64 s[4:5], -1
	s_and_b64 vcc, exec, s[8:9]
	s_cbranch_vccnz .LBB21_749
; %bb.740:
	v_mov_b32_e32 v4, 3
	v_cmp_lt_i16_sdwa s[8:9], v27, v4 src0_sel:BYTE_0 src1_sel:DWORD
	s_and_b64 vcc, exec, s[8:9]
	s_cbranch_vccnz .LBB21_746
; %bb.741:
	v_cmp_gt_i16_sdwa s[8:9], v27, v4 src0_sel:BYTE_0 src1_sel:DWORD
	s_and_b64 vcc, exec, s[8:9]
	s_cbranch_vccz .LBB21_743
; %bb.742:
	v_trunc_f32_e32 v4, v22
	s_mov_b32 s4, 0x2f800000
	v_mul_f32_e64 v5, |v4|, s4
	v_floor_f32_e32 v5, v5
	s_mov_b32 s4, 0xcf800000
	v_cvt_u32_f32_e32 v6, v5
	v_fma_f32 v5, v5, s4, |v4|
	v_cvt_u32_f32_e32 v5, v5
	v_ashrrev_i32_e32 v7, 31, v4
	v_xor_b32_e32 v6, v6, v7
	s_mov_b64 s[4:5], 0
	v_xor_b32_e32 v4, v5, v7
	v_sub_co_u32_e32 v4, vcc, v4, v7
	v_subb_co_u32_e32 v5, vcc, v6, v7, vcc
	global_store_dwordx2 v[2:3], v[4:5], off
.LBB21_743:
	s_andn2_b64 vcc, exec, s[4:5]
	s_cbranch_vccnz .LBB21_745
; %bb.744:
	v_cvt_i32_f32_e32 v4, v22
	global_store_dword v[2:3], v4, off
.LBB21_745:
	s_mov_b64 s[4:5], 0
.LBB21_746:
	s_andn2_b64 vcc, exec, s[4:5]
	s_cbranch_vccnz .LBB21_748
; %bb.747:
	v_cvt_i32_f32_e32 v4, v22
	global_store_short v[2:3], v4, off
.LBB21_748:
	s_mov_b64 s[4:5], 0
.LBB21_749:
	s_andn2_b64 vcc, exec, s[4:5]
	s_cbranch_vccnz .LBB21_754
; %bb.750:
	v_mov_b32_e32 v4, 0
	v_cmp_gt_i16_sdwa s[8:9], v27, v4 src0_sel:BYTE_0 src1_sel:DWORD
	s_mov_b64 s[4:5], -1
	s_and_b64 vcc, exec, s[8:9]
	s_cbranch_vccz .LBB21_752
; %bb.751:
	v_cvt_i32_f32_e32 v4, v22
	s_mov_b64 s[4:5], 0
	global_store_byte v[2:3], v4, off
.LBB21_752:
	s_andn2_b64 vcc, exec, s[4:5]
	s_cbranch_vccnz .LBB21_754
; %bb.753:
	v_trunc_f32_e32 v4, v22
	s_mov_b32 s4, 0x2f800000
	v_mul_f32_e64 v5, |v4|, s4
	v_floor_f32_e32 v5, v5
	s_mov_b32 s4, 0xcf800000
	v_fma_f32 v5, v5, s4, |v4|
	v_cvt_u32_f32_e32 v5, v5
	v_ashrrev_i32_e32 v4, 31, v4
	v_xor_b32_e32 v5, v5, v4
	v_sub_u32_e32 v4, v5, v4
	global_store_byte v[2:3], v4, off
.LBB21_754:
.LBB21_755:
	v_add_u32_e32 v1, s16, v1
	v_ashrrev_i32_e32 v3, 31, v1
	v_mov_b32_e32 v4, s37
	v_add_co_u32_e32 v2, vcc, s36, v1
	v_addc_co_u32_e32 v3, vcc, v4, v3, vcc
	v_mov_b32_e32 v4, 11
	v_cmp_lt_i16_sdwa s[4:5], v27, v4 src0_sel:BYTE_0 src1_sel:DWORD
	s_and_b64 vcc, exec, s[4:5]
	s_cbranch_vccnz .LBB21_762
; %bb.756:
	v_mov_b32_e32 v4, 25
	v_cmp_gt_i16_sdwa s[4:5], v27, v4 src0_sel:BYTE_0 src1_sel:DWORD
	s_mov_b64 s[12:13], -1
	s_mov_b64 s[8:9], 0
	s_and_b64 vcc, exec, s[4:5]
	s_mov_b64 s[10:11], 0
	s_mov_b64 s[4:5], 0
	s_cbranch_vccz .LBB21_876
; %bb.757:
	v_mov_b32_e32 v4, 28
	v_cmp_gt_i16_sdwa s[4:5], v27, v4 src0_sel:BYTE_0 src1_sel:DWORD
	s_and_b64 vcc, exec, s[4:5]
	s_cbranch_vccz .LBB21_841
; %bb.758:
	v_mov_b32_e32 v4, 43
	v_cmp_gt_i16_sdwa s[4:5], v27, v4 src0_sel:BYTE_0 src1_sel:DWORD
	s_and_b64 vcc, exec, s[4:5]
	;; [unrolled: 5-line block ×3, first 2 shown]
	s_cbranch_vccz .LBB21_848
; %bb.760:
	v_mov_b32_e32 v4, 46
	v_cmp_eq_u16_sdwa s[10:11], v27, v4 src0_sel:BYTE_0 src1_sel:DWORD
	s_mov_b64 s[4:5], -1
	s_mov_b64 s[12:13], 0
	s_and_b64 vcc, exec, s[10:11]
	s_mov_b64 s[10:11], 0
	s_cbranch_vccz .LBB21_849
; %bb.761:
	v_bfe_u32 v4, v20, 16, 1
	s_movk_i32 s4, 0x7fff
	v_add3_u32 v4, v20, v4, s4
	v_lshrrev_b32_e32 v4, 16, v4
	v_mov_b32_e32 v5, 0x7fc0
	v_cmp_o_f32_e32 vcc, v20, v20
	v_cndmask_b32_e32 v4, v5, v4, vcc
	global_store_dword v[2:3], v4, off
	s_mov_b64 s[4:5], 0
	s_mov_b64 s[10:11], -1
	s_branch .LBB21_849
.LBB21_762:
	s_mov_b64 s[10:11], 0
	s_cbranch_execnz .LBB21_920
.LBB21_763:
	s_andn2_b64 vcc, exec, s[10:11]
	s_cbranch_vccnz .LBB21_958
.LBB21_764:
	v_add_u32_e32 v1, s16, v1
	v_ashrrev_i32_e32 v3, 31, v1
	v_mov_b32_e32 v4, s37
	v_add_co_u32_e32 v2, vcc, s36, v1
	v_addc_co_u32_e32 v3, vcc, v4, v3, vcc
	v_and_b32_e32 v4, 0xff, v27
	v_cmp_gt_i16_e32 vcc, 11, v4
	s_cbranch_vccnz .LBB21_840
; %bb.765:
	v_cmp_lt_i16_e32 vcc, 25, v4
	s_mov_b64 s[10:11], -1
	s_mov_b64 s[8:9], 0
	s_mov_b64 s[4:5], 0
	s_cbranch_vccz .LBB21_798
; %bb.766:
	v_cmp_lt_i16_e32 vcc, 28, v4
	s_cbranch_vccz .LBB21_782
; %bb.767:
	v_cmp_lt_i16_e32 vcc, 43, v4
	;; [unrolled: 3-line block ×3, first 2 shown]
	s_cbranch_vccz .LBB21_772
; %bb.769:
	v_cmp_eq_u16_e32 vcc, 46, v4
	s_mov_b64 s[4:5], -1
	s_cbranch_vccz .LBB21_771
; %bb.770:
	v_bfe_u32 v1, v0, 16, 1
	s_movk_i32 s4, 0x7fff
	v_add3_u32 v1, v0, v1, s4
	v_lshrrev_b32_e32 v1, 16, v1
	v_mov_b32_e32 v5, 0x7fc0
	v_cmp_o_f32_e32 vcc, v0, v0
	v_cndmask_b32_e32 v1, v5, v1, vcc
	global_store_dword v[2:3], v1, off
	s_mov_b64 s[4:5], 0
.LBB21_771:
	s_mov_b64 s[10:11], 0
.LBB21_772:
	s_and_b64 vcc, exec, s[10:11]
	s_cbranch_vccz .LBB21_777
; %bb.773:
	v_cmp_eq_u16_e32 vcc, 44, v4
	s_mov_b64 s[4:5], -1
	s_cbranch_vccz .LBB21_777
; %bb.774:
	v_bfe_u32 v1, v0, 23, 8
	s_movk_i32 s4, 0xff
	v_cmp_ne_u32_e32 vcc, s4, v1
	v_mov_b32_e32 v5, 0xff
	s_and_saveexec_b64 s[10:11], vcc
; %bb.775:
	s_mov_b32 s4, 0x3fffff
	v_and_b32_e32 v6, 0x400000, v0
	v_and_or_b32 v1, v0, s4, v1
	v_cmp_ne_u32_e32 vcc, 0, v6
	v_cmp_ne_u32_e64 s[4:5], 0, v1
	s_and_b64 s[4:5], vcc, s[4:5]
	v_lshrrev_b32_e32 v5, 23, v0
	v_cndmask_b32_e64 v1, 0, 1, s[4:5]
	v_add_u32_e32 v5, v5, v1
; %bb.776:
	s_or_b64 exec, exec, s[10:11]
	s_mov_b64 s[4:5], 0
	global_store_byte v[2:3], v5, off
.LBB21_777:
	s_mov_b64 s[10:11], 0
.LBB21_778:
	s_and_b64 vcc, exec, s[10:11]
	s_cbranch_vccz .LBB21_781
; %bb.779:
	v_cmp_eq_u16_e32 vcc, 29, v4
	s_mov_b64 s[4:5], -1
	s_cbranch_vccz .LBB21_781
; %bb.780:
	v_trunc_f32_e32 v1, v0
	v_mul_f32_e32 v5, 0x2f800000, v1
	v_floor_f32_e32 v5, v5
	v_fmac_f32_e32 v1, 0xcf800000, v5
	v_cvt_u32_f32_e32 v7, v5
	v_cvt_u32_f32_e32 v6, v1
	s_mov_b64 s[4:5], 0
	global_store_dwordx2 v[2:3], v[6:7], off
.LBB21_781:
	s_mov_b64 s[10:11], 0
.LBB21_782:
	s_and_b64 vcc, exec, s[10:11]
	s_cbranch_vccz .LBB21_797
; %bb.783:
	v_cmp_gt_i16_e32 vcc, 27, v4
	s_mov_b64 s[10:11], -1
	s_cbranch_vccnz .LBB21_789
; %bb.784:
	v_cvt_u32_f32_e32 v1, v0
	v_cmp_lt_i16_e32 vcc, 27, v4
	s_cbranch_vccz .LBB21_786
; %bb.785:
	global_store_dword v[2:3], v1, off
	s_mov_b64 s[10:11], 0
.LBB21_786:
	s_andn2_b64 vcc, exec, s[10:11]
	s_cbranch_vccnz .LBB21_788
; %bb.787:
	global_store_short v[2:3], v1, off
.LBB21_788:
	s_mov_b64 s[10:11], 0
.LBB21_789:
	s_andn2_b64 vcc, exec, s[10:11]
	s_cbranch_vccnz .LBB21_797
; %bb.790:
	v_and_b32_e32 v1, 0x7fffffff, v0
	s_mov_b32 s10, 0x43800000
	v_cmp_gt_u32_e32 vcc, s10, v1
	v_mov_b32_e32 v5, 0x80
	s_and_saveexec_b64 s[10:11], vcc
	s_cbranch_execz .LBB21_796
; %bb.791:
	s_mov_b32 s12, 0x3bffffff
	v_cmp_lt_u32_e32 vcc, s12, v1
	s_mov_b64 s[12:13], 0
                                        ; implicit-def: $vgpr1
	s_and_saveexec_b64 s[14:15], vcc
	s_xor_b64 s[14:15], exec, s[14:15]
	s_cbranch_execz .LBB21_1008
; %bb.792:
	v_bfe_u32 v1, v0, 20, 1
	s_mov_b32 s16, 0x487ffff
	v_add3_u32 v1, v0, v1, s16
	s_mov_b64 s[12:13], exec
	v_lshrrev_b32_e32 v1, 20, v1
	s_or_saveexec_b64 s[14:15], s[14:15]
                                        ; implicit-def: $sgpr16
	s_xor_b64 exec, exec, s[14:15]
	s_cbranch_execnz .LBB21_1009
.LBB21_793:
	s_or_b64 exec, exec, s[14:15]
	v_mov_b32_e32 v5, s16
	s_and_saveexec_b64 s[14:15], s[12:13]
.LBB21_794:
	v_lshrrev_b32_e32 v5, 24, v0
	s_movk_i32 s12, 0x80
	v_and_or_b32 v5, v5, s12, v1
.LBB21_795:
	s_or_b64 exec, exec, s[14:15]
.LBB21_796:
	s_or_b64 exec, exec, s[10:11]
	global_store_byte v[2:3], v5, off
.LBB21_797:
	s_mov_b64 s[10:11], 0
.LBB21_798:
	s_and_b64 vcc, exec, s[10:11]
	s_cbranch_vccz .LBB21_838
; %bb.799:
	v_cmp_lt_i16_e32 vcc, 22, v4
	s_mov_b64 s[8:9], -1
	s_cbranch_vccz .LBB21_831
; %bb.800:
	v_cmp_gt_i16_e32 vcc, 24, v4
	s_cbranch_vccnz .LBB21_820
; %bb.801:
	v_cmp_lt_i16_e32 vcc, 24, v4
	s_cbranch_vccz .LBB21_809
; %bb.802:
	v_and_b32_e32 v1, 0x7fffffff, v0
	s_mov_b32 s8, 0x47800000
	v_cmp_gt_u32_e32 vcc, s8, v1
	v_mov_b32_e32 v5, 0x80
	s_and_saveexec_b64 s[8:9], vcc
	s_cbranch_execz .LBB21_808
; %bb.803:
	s_mov_b32 s10, 0x37ffffff
	v_cmp_lt_u32_e32 vcc, s10, v1
	s_mov_b64 s[10:11], 0
                                        ; implicit-def: $vgpr1
	s_and_saveexec_b64 s[12:13], vcc
	s_xor_b64 s[12:13], exec, s[12:13]
	s_cbranch_execz .LBB21_1017
; %bb.804:
	v_bfe_u32 v1, v0, 21, 1
	s_mov_b32 s14, 0x88fffff
	v_add3_u32 v1, v0, v1, s14
	s_mov_b64 s[10:11], exec
	v_lshrrev_b32_e32 v1, 21, v1
	s_or_saveexec_b64 s[12:13], s[12:13]
                                        ; implicit-def: $sgpr14
	s_xor_b64 exec, exec, s[12:13]
	s_cbranch_execnz .LBB21_1018
.LBB21_805:
	s_or_b64 exec, exec, s[12:13]
	v_mov_b32_e32 v5, s14
	s_and_saveexec_b64 s[12:13], s[10:11]
.LBB21_806:
	v_lshrrev_b32_e32 v5, 24, v0
	s_movk_i32 s10, 0x80
	v_and_or_b32 v5, v5, s10, v1
.LBB21_807:
	s_or_b64 exec, exec, s[12:13]
.LBB21_808:
	s_or_b64 exec, exec, s[8:9]
	s_mov_b64 s[8:9], 0
	global_store_byte v[2:3], v5, off
.LBB21_809:
	s_and_b64 vcc, exec, s[8:9]
	s_cbranch_vccz .LBB21_819
; %bb.810:
	v_and_b32_e32 v5, 0x7fffffff, v0
	s_mov_b32 s8, 0x43f00000
	v_cmp_gt_u32_e32 vcc, s8, v5
                                        ; implicit-def: $vgpr1
	s_and_saveexec_b64 s[8:9], vcc
	s_xor_b64 s[8:9], exec, s[8:9]
	s_cbranch_execz .LBB21_816
; %bb.811:
	s_mov_b32 s10, 0x3c7fffff
	v_cmp_lt_u32_e32 vcc, s10, v5
                                        ; implicit-def: $vgpr1
	s_and_saveexec_b64 s[10:11], vcc
	s_xor_b64 s[10:11], exec, s[10:11]
; %bb.812:
	v_bfe_u32 v1, v0, 20, 1
	s_mov_b32 s12, 0x407ffff
	v_add3_u32 v1, v0, v1, s12
	v_lshrrev_b32_e32 v5, 20, v1
	v_and_b32_e32 v1, 0xff00000, v1
	s_mov_b32 s12, 0x7f00000
	v_mov_b32_e32 v6, 0x7e
	v_cmp_ne_u32_e32 vcc, s12, v1
	v_cndmask_b32_e32 v1, v6, v5, vcc
; %bb.813:
	s_andn2_saveexec_b64 s[10:11], s[10:11]
; %bb.814:
	s_mov_b32 s12, 0x46800000
	v_add_f32_e64 v1, |v0|, s12
; %bb.815:
	s_or_b64 exec, exec, s[10:11]
                                        ; implicit-def: $vgpr5
.LBB21_816:
	s_andn2_saveexec_b64 s[8:9], s[8:9]
; %bb.817:
	s_mov_b32 s10, 0x7f800000
	v_mov_b32_e32 v1, 0x7e
	v_mov_b32_e32 v6, 0x7f
	v_cmp_lt_u32_e32 vcc, s10, v5
	v_cndmask_b32_e32 v1, v1, v6, vcc
; %bb.818:
	s_or_b64 exec, exec, s[8:9]
	v_lshrrev_b32_e32 v5, 24, v0
	s_movk_i32 s8, 0x80
	v_and_or_b32 v1, v5, s8, v1
	global_store_byte v[2:3], v1, off
.LBB21_819:
	s_mov_b64 s[8:9], 0
.LBB21_820:
	s_andn2_b64 vcc, exec, s[8:9]
	s_cbranch_vccnz .LBB21_830
; %bb.821:
	v_and_b32_e32 v5, 0x7fffffff, v0
	s_mov_b32 s8, 0x47800000
	v_cmp_gt_u32_e32 vcc, s8, v5
                                        ; implicit-def: $vgpr1
	s_and_saveexec_b64 s[8:9], vcc
	s_xor_b64 s[8:9], exec, s[8:9]
	s_cbranch_execz .LBB21_827
; %bb.822:
	s_mov_b32 s10, 0x387fffff
	v_cmp_lt_u32_e32 vcc, s10, v5
                                        ; implicit-def: $vgpr1
	s_and_saveexec_b64 s[10:11], vcc
	s_xor_b64 s[10:11], exec, s[10:11]
; %bb.823:
	v_bfe_u32 v1, v0, 21, 1
	s_mov_b32 s12, 0x80fffff
	v_add3_u32 v1, v0, v1, s12
	v_lshrrev_b32_e32 v1, 21, v1
; %bb.824:
	s_andn2_saveexec_b64 s[10:11], s[10:11]
; %bb.825:
	s_mov_b32 s12, 0x43000000
	v_add_f32_e64 v1, |v0|, s12
; %bb.826:
	s_or_b64 exec, exec, s[10:11]
                                        ; implicit-def: $vgpr5
.LBB21_827:
	s_andn2_saveexec_b64 s[8:9], s[8:9]
; %bb.828:
	s_mov_b32 s10, 0x7f800000
	v_mov_b32_e32 v1, 0x7c
	v_mov_b32_e32 v6, 0x7f
	v_cmp_lt_u32_e32 vcc, s10, v5
	v_cndmask_b32_e32 v1, v1, v6, vcc
; %bb.829:
	s_or_b64 exec, exec, s[8:9]
	v_lshrrev_b32_e32 v5, 24, v0
	s_movk_i32 s8, 0x80
	v_and_or_b32 v1, v5, s8, v1
	global_store_byte v[2:3], v1, off
.LBB21_830:
	s_mov_b64 s[8:9], 0
.LBB21_831:
	s_andn2_b64 vcc, exec, s[8:9]
	s_mov_b64 s[8:9], 0
	s_cbranch_vccnz .LBB21_838
; %bb.832:
	v_cmp_lt_i16_e32 vcc, 14, v4
	s_mov_b64 s[10:11], -1
	s_cbranch_vccz .LBB21_836
; %bb.833:
	v_cmp_eq_u16_e32 vcc, 15, v4
	s_mov_b64 s[4:5], -1
	s_cbranch_vccz .LBB21_835
; %bb.834:
	v_bfe_u32 v1, v0, 16, 1
	s_movk_i32 s4, 0x7fff
	v_add3_u32 v1, v0, v1, s4
	v_lshrrev_b32_e32 v1, 16, v1
	v_mov_b32_e32 v5, 0x7fc0
	v_cmp_o_f32_e32 vcc, v0, v0
	v_cndmask_b32_e32 v1, v5, v1, vcc
	global_store_short v[2:3], v1, off
	s_mov_b64 s[4:5], 0
.LBB21_835:
	s_mov_b64 s[10:11], 0
.LBB21_836:
	s_and_b64 vcc, exec, s[10:11]
	s_cbranch_vccz .LBB21_838
; %bb.837:
	v_cmp_ne_u16_e64 s[4:5], 11, v4
	s_mov_b64 s[8:9], -1
.LBB21_838:
	s_and_b64 vcc, exec, s[4:5]
	s_cbranch_vccnz .LBB21_1012
.LBB21_839:
	s_mov_b64 s[4:5], 0
	s_branch .LBB21_959
.LBB21_840:
	s_mov_b64 s[8:9], 0
	s_mov_b64 s[4:5], -1
	s_branch .LBB21_959
.LBB21_841:
	s_mov_b64 s[4:5], 0
	s_branch .LBB21_859
.LBB21_842:
	s_or_saveexec_b64 s[14:15], s[14:15]
                                        ; implicit-def: $sgpr17
	s_xor_b64 exec, exec, s[14:15]
	s_cbranch_execz .LBB21_667
.LBB21_843:
	s_mov_b32 s17, 0x46000000
	v_add_f32_e64 v4, |v22|, s17
	v_and_b32_e32 v4, 0xff, v4
	v_cmp_ne_u32_e32 vcc, 0, v4
	s_andn2_b64 s[12:13], s[12:13], exec
	s_and_b64 s[18:19], vcc, exec
	s_mov_b32 s17, 0
	s_or_b64 s[12:13], s[12:13], s[18:19]
	s_or_b64 exec, exec, s[14:15]
	v_mov_b32_e32 v5, s17
	s_and_saveexec_b64 s[14:15], s[12:13]
	s_cbranch_execnz .LBB21_668
	s_branch .LBB21_669
.LBB21_844:
	s_mov_b64 s[4:5], 0
	s_branch .LBB21_855
.LBB21_845:
	s_trap 2
	s_or_b64 s[6:7], s[6:7], exec
	s_cbranch_execz .LBB21_715
	s_branch .LBB21_716
.LBB21_846:
	s_or_saveexec_b64 s[12:13], s[12:13]
                                        ; implicit-def: $sgpr14
	s_xor_b64 exec, exec, s[12:13]
	s_cbranch_execz .LBB21_680
.LBB21_847:
	s_mov_b32 s14, 0x42800000
	v_add_f32_e64 v4, |v22|, s14
	v_and_b32_e32 v4, 0xff, v4
	v_cmp_ne_u32_e32 vcc, 0, v4
	s_andn2_b64 s[10:11], s[10:11], exec
	s_and_b64 s[18:19], vcc, exec
	s_mov_b32 s14, 0
	s_or_b64 s[10:11], s[10:11], s[18:19]
	s_or_b64 exec, exec, s[12:13]
	v_mov_b32_e32 v5, s14
	s_and_saveexec_b64 s[12:13], s[10:11]
	s_cbranch_execnz .LBB21_681
	s_branch .LBB21_682
.LBB21_848:
	s_mov_b64 s[4:5], 0
.LBB21_849:
	s_and_b64 vcc, exec, s[12:13]
	s_cbranch_vccz .LBB21_854
; %bb.850:
	v_mov_b32_e32 v4, 44
	v_cmp_eq_u16_sdwa s[12:13], v27, v4 src0_sel:BYTE_0 src1_sel:DWORD
	s_mov_b64 s[4:5], -1
	s_and_b64 vcc, exec, s[12:13]
	s_cbranch_vccz .LBB21_854
; %bb.851:
	v_bfe_u32 v4, v20, 23, 8
	s_movk_i32 s4, 0xff
	v_cmp_ne_u32_e32 vcc, s4, v4
	v_mov_b32_e32 v5, 0xff
	s_and_saveexec_b64 s[10:11], vcc
; %bb.852:
	s_mov_b32 s4, 0x3fffff
	v_and_b32_e32 v6, 0x400000, v20
	v_and_or_b32 v4, v20, s4, v4
	v_cmp_ne_u32_e32 vcc, 0, v6
	v_cmp_ne_u32_e64 s[4:5], 0, v4
	s_and_b64 s[4:5], vcc, s[4:5]
	v_lshrrev_b32_e32 v5, 23, v20
	v_cndmask_b32_e64 v4, 0, 1, s[4:5]
	v_add_u32_e32 v5, v5, v4
; %bb.853:
	s_or_b64 exec, exec, s[10:11]
	s_mov_b64 s[4:5], 0
	s_mov_b64 s[10:11], -1
	global_store_byte v[2:3], v5, off
.LBB21_854:
	s_mov_b64 s[12:13], 0
.LBB21_855:
	s_and_b64 vcc, exec, s[12:13]
	s_cbranch_vccz .LBB21_858
; %bb.856:
	v_mov_b32_e32 v4, 29
	v_cmp_eq_u16_sdwa s[12:13], v27, v4 src0_sel:BYTE_0 src1_sel:DWORD
	s_mov_b64 s[4:5], -1
	s_and_b64 vcc, exec, s[12:13]
	s_cbranch_vccz .LBB21_858
; %bb.857:
	v_trunc_f32_e32 v4, v20
	v_mul_f32_e32 v5, 0x2f800000, v4
	v_floor_f32_e32 v6, v5
	v_fmac_f32_e32 v4, 0xcf800000, v6
	v_cvt_u32_f32_e32 v5, v6
	v_cvt_u32_f32_e32 v4, v4
	s_mov_b64 s[4:5], 0
	s_mov_b64 s[10:11], -1
	s_mov_b64 s[12:13], 0
	global_store_dwordx2 v[2:3], v[4:5], off
	s_branch .LBB21_859
.LBB21_858:
	s_mov_b64 s[12:13], 0
.LBB21_859:
	s_and_b64 vcc, exec, s[12:13]
	s_cbranch_vccz .LBB21_875
; %bb.860:
	v_mov_b32_e32 v4, 27
	v_cmp_lt_i16_sdwa s[12:13], v27, v4 src0_sel:BYTE_0 src1_sel:DWORD
	s_mov_b64 s[10:11], -1
	s_and_b64 vcc, exec, s[12:13]
	s_cbranch_vccnz .LBB21_866
; %bb.861:
	v_cmp_gt_i16_sdwa s[12:13], v27, v4 src0_sel:BYTE_0 src1_sel:DWORD
	v_cvt_u32_f32_e32 v4, v20
	s_and_b64 vcc, exec, s[12:13]
	s_cbranch_vccz .LBB21_863
; %bb.862:
	s_mov_b64 s[10:11], 0
	global_store_dword v[2:3], v4, off
.LBB21_863:
	s_andn2_b64 vcc, exec, s[10:11]
	s_cbranch_vccnz .LBB21_865
; %bb.864:
	global_store_short v[2:3], v4, off
.LBB21_865:
	s_mov_b64 s[10:11], 0
.LBB21_866:
	s_andn2_b64 vcc, exec, s[10:11]
	s_cbranch_vccnz .LBB21_874
; %bb.867:
	v_and_b32_e32 v4, 0x7fffffff, v20
	s_mov_b32 s10, 0x43800000
	v_cmp_gt_u32_e32 vcc, s10, v4
	v_mov_b32_e32 v5, 0x80
	s_and_saveexec_b64 s[10:11], vcc
	s_cbranch_execz .LBB21_873
; %bb.868:
	s_mov_b32 s12, 0x3bffffff
	v_cmp_lt_u32_e32 vcc, s12, v4
	s_mov_b64 s[12:13], 0
                                        ; implicit-def: $vgpr4
	s_and_saveexec_b64 s[14:15], vcc
	s_xor_b64 s[14:15], exec, s[14:15]
	s_cbranch_execz .LBB21_1003
; %bb.869:
	v_bfe_u32 v4, v20, 20, 1
	s_mov_b32 s17, 0x487ffff
	v_add3_u32 v4, v20, v4, s17
	s_mov_b64 s[12:13], exec
	v_lshrrev_b32_e32 v4, 20, v4
	s_or_saveexec_b64 s[14:15], s[14:15]
                                        ; implicit-def: $sgpr17
	s_xor_b64 exec, exec, s[14:15]
	s_cbranch_execnz .LBB21_1004
.LBB21_870:
	s_or_b64 exec, exec, s[14:15]
	v_mov_b32_e32 v5, s17
	s_and_saveexec_b64 s[14:15], s[12:13]
.LBB21_871:
	v_lshrrev_b32_e32 v5, 24, v20
	s_movk_i32 s12, 0x80
	v_and_or_b32 v5, v5, s12, v4
.LBB21_872:
	s_or_b64 exec, exec, s[14:15]
.LBB21_873:
	s_or_b64 exec, exec, s[10:11]
	global_store_byte v[2:3], v5, off
.LBB21_874:
	s_mov_b64 s[10:11], -1
.LBB21_875:
	s_mov_b64 s[12:13], 0
.LBB21_876:
	s_and_b64 vcc, exec, s[12:13]
	s_cbranch_vccz .LBB21_916
; %bb.877:
	v_mov_b32_e32 v4, 22
	v_cmp_gt_i16_sdwa s[12:13], v27, v4 src0_sel:BYTE_0 src1_sel:DWORD
	s_mov_b64 s[8:9], -1
	s_and_b64 vcc, exec, s[12:13]
	s_cbranch_vccz .LBB21_909
; %bb.878:
	v_mov_b32_e32 v4, 24
	v_cmp_lt_i16_sdwa s[10:11], v27, v4 src0_sel:BYTE_0 src1_sel:DWORD
	s_and_b64 vcc, exec, s[10:11]
	s_cbranch_vccnz .LBB21_898
; %bb.879:
	v_cmp_gt_i16_sdwa s[10:11], v27, v4 src0_sel:BYTE_0 src1_sel:DWORD
	s_and_b64 vcc, exec, s[10:11]
	s_cbranch_vccz .LBB21_887
; %bb.880:
	v_and_b32_e32 v4, 0x7fffffff, v20
	s_mov_b32 s8, 0x47800000
	v_cmp_gt_u32_e32 vcc, s8, v4
	v_mov_b32_e32 v5, 0x80
	s_and_saveexec_b64 s[8:9], vcc
	s_cbranch_execz .LBB21_886
; %bb.881:
	s_mov_b32 s10, 0x37ffffff
	v_cmp_lt_u32_e32 vcc, s10, v4
	s_mov_b64 s[10:11], 0
                                        ; implicit-def: $vgpr4
	s_and_saveexec_b64 s[12:13], vcc
	s_xor_b64 s[12:13], exec, s[12:13]
	s_cbranch_execz .LBB21_1010
; %bb.882:
	v_bfe_u32 v4, v20, 21, 1
	s_mov_b32 s14, 0x88fffff
	v_add3_u32 v4, v20, v4, s14
	s_mov_b64 s[10:11], exec
	v_lshrrev_b32_e32 v4, 21, v4
	s_or_saveexec_b64 s[12:13], s[12:13]
                                        ; implicit-def: $sgpr14
	s_xor_b64 exec, exec, s[12:13]
	s_cbranch_execnz .LBB21_1011
.LBB21_883:
	s_or_b64 exec, exec, s[12:13]
	v_mov_b32_e32 v5, s14
	s_and_saveexec_b64 s[12:13], s[10:11]
.LBB21_884:
	v_lshrrev_b32_e32 v5, 24, v20
	s_movk_i32 s10, 0x80
	v_and_or_b32 v5, v5, s10, v4
.LBB21_885:
	s_or_b64 exec, exec, s[12:13]
.LBB21_886:
	s_or_b64 exec, exec, s[8:9]
	s_mov_b64 s[8:9], 0
	global_store_byte v[2:3], v5, off
.LBB21_887:
	s_and_b64 vcc, exec, s[8:9]
	s_cbranch_vccz .LBB21_897
; %bb.888:
	v_and_b32_e32 v5, 0x7fffffff, v20
	s_mov_b32 s8, 0x43f00000
	v_cmp_gt_u32_e32 vcc, s8, v5
                                        ; implicit-def: $vgpr4
	s_and_saveexec_b64 s[8:9], vcc
	s_xor_b64 s[8:9], exec, s[8:9]
	s_cbranch_execz .LBB21_894
; %bb.889:
	s_mov_b32 s10, 0x3c7fffff
	v_cmp_lt_u32_e32 vcc, s10, v5
                                        ; implicit-def: $vgpr4
	s_and_saveexec_b64 s[10:11], vcc
	s_xor_b64 s[10:11], exec, s[10:11]
; %bb.890:
	v_bfe_u32 v4, v20, 20, 1
	s_mov_b32 s12, 0x407ffff
	v_add3_u32 v4, v20, v4, s12
	v_lshrrev_b32_e32 v5, 20, v4
	v_and_b32_e32 v4, 0xff00000, v4
	s_mov_b32 s12, 0x7f00000
	v_mov_b32_e32 v6, 0x7e
	v_cmp_ne_u32_e32 vcc, s12, v4
	v_cndmask_b32_e32 v4, v6, v5, vcc
; %bb.891:
	s_andn2_saveexec_b64 s[10:11], s[10:11]
; %bb.892:
	s_mov_b32 s12, 0x46800000
	v_add_f32_e64 v4, |v20|, s12
; %bb.893:
	s_or_b64 exec, exec, s[10:11]
                                        ; implicit-def: $vgpr5
.LBB21_894:
	s_andn2_saveexec_b64 s[8:9], s[8:9]
; %bb.895:
	s_mov_b32 s10, 0x7f800000
	v_mov_b32_e32 v4, 0x7e
	v_mov_b32_e32 v6, 0x7f
	v_cmp_lt_u32_e32 vcc, s10, v5
	v_cndmask_b32_e32 v4, v4, v6, vcc
; %bb.896:
	s_or_b64 exec, exec, s[8:9]
	v_lshrrev_b32_e32 v5, 24, v20
	s_movk_i32 s8, 0x80
	v_and_or_b32 v4, v5, s8, v4
	global_store_byte v[2:3], v4, off
.LBB21_897:
	s_mov_b64 s[8:9], 0
.LBB21_898:
	s_andn2_b64 vcc, exec, s[8:9]
	s_cbranch_vccnz .LBB21_908
; %bb.899:
	v_and_b32_e32 v5, 0x7fffffff, v20
	s_mov_b32 s8, 0x47800000
	v_cmp_gt_u32_e32 vcc, s8, v5
                                        ; implicit-def: $vgpr4
	s_and_saveexec_b64 s[8:9], vcc
	s_xor_b64 s[8:9], exec, s[8:9]
	s_cbranch_execz .LBB21_905
; %bb.900:
	s_mov_b32 s10, 0x387fffff
	v_cmp_lt_u32_e32 vcc, s10, v5
                                        ; implicit-def: $vgpr4
	s_and_saveexec_b64 s[10:11], vcc
	s_xor_b64 s[10:11], exec, s[10:11]
; %bb.901:
	v_bfe_u32 v4, v20, 21, 1
	s_mov_b32 s12, 0x80fffff
	v_add3_u32 v4, v20, v4, s12
	v_lshrrev_b32_e32 v4, 21, v4
; %bb.902:
	s_andn2_saveexec_b64 s[10:11], s[10:11]
; %bb.903:
	s_mov_b32 s12, 0x43000000
	v_add_f32_e64 v4, |v20|, s12
; %bb.904:
	s_or_b64 exec, exec, s[10:11]
                                        ; implicit-def: $vgpr5
.LBB21_905:
	s_andn2_saveexec_b64 s[8:9], s[8:9]
; %bb.906:
	s_mov_b32 s10, 0x7f800000
	v_mov_b32_e32 v4, 0x7c
	v_mov_b32_e32 v6, 0x7f
	v_cmp_lt_u32_e32 vcc, s10, v5
	v_cndmask_b32_e32 v4, v4, v6, vcc
; %bb.907:
	s_or_b64 exec, exec, s[8:9]
	v_lshrrev_b32_e32 v5, 24, v20
	s_movk_i32 s8, 0x80
	v_and_or_b32 v4, v5, s8, v4
	global_store_byte v[2:3], v4, off
.LBB21_908:
	s_mov_b64 s[8:9], 0
	s_mov_b64 s[10:11], -1
.LBB21_909:
	s_andn2_b64 vcc, exec, s[8:9]
	s_mov_b64 s[8:9], 0
	s_cbranch_vccnz .LBB21_916
; %bb.910:
	v_mov_b32_e32 v4, 14
	v_cmp_gt_i16_sdwa s[8:9], v27, v4 src0_sel:BYTE_0 src1_sel:DWORD
	s_mov_b64 s[12:13], -1
	s_and_b64 vcc, exec, s[8:9]
	s_cbranch_vccz .LBB21_914
; %bb.911:
	v_mov_b32_e32 v4, 15
	v_cmp_eq_u16_sdwa s[8:9], v27, v4 src0_sel:BYTE_0 src1_sel:DWORD
	s_mov_b64 s[4:5], -1
	s_and_b64 vcc, exec, s[8:9]
	s_cbranch_vccz .LBB21_913
; %bb.912:
	v_bfe_u32 v4, v20, 16, 1
	s_movk_i32 s4, 0x7fff
	v_add3_u32 v4, v20, v4, s4
	v_lshrrev_b32_e32 v4, 16, v4
	v_mov_b32_e32 v5, 0x7fc0
	v_cmp_o_f32_e32 vcc, v20, v20
	v_cndmask_b32_e32 v4, v5, v4, vcc
	global_store_short v[2:3], v4, off
	s_mov_b64 s[4:5], 0
	s_mov_b64 s[10:11], -1
.LBB21_913:
	s_mov_b64 s[12:13], 0
.LBB21_914:
	s_mov_b64 s[8:9], 0
	s_and_b64 vcc, exec, s[12:13]
	s_cbranch_vccz .LBB21_916
; %bb.915:
	v_mov_b32_e32 v4, 11
	v_cmp_ne_u16_sdwa s[4:5], v27, v4 src0_sel:BYTE_0 src1_sel:DWORD
	s_mov_b64 s[8:9], -1
.LBB21_916:
	s_and_b64 vcc, exec, s[4:5]
	s_cbranch_vccnz .LBB21_1005
; %bb.917:
	s_andn2_b64 vcc, exec, s[8:9]
	s_cbranch_vccnz .LBB21_919
.LBB21_918:
	v_cmp_neq_f32_e32 vcc, 0, v20
	v_cndmask_b32_e64 v4, 0, 1, vcc
	s_mov_b64 s[10:11], -1
	global_store_byte v[2:3], v4, off
.LBB21_919:
	s_branch .LBB21_763
.LBB21_920:
	v_mov_b32_e32 v4, 5
	v_cmp_lt_i16_sdwa s[8:9], v27, v4 src0_sel:BYTE_0 src1_sel:DWORD
	s_mov_b64 s[4:5], -1
	s_and_b64 vcc, exec, s[8:9]
	s_cbranch_vccnz .LBB21_941
; %bb.921:
	v_mov_b32_e32 v4, 8
	v_cmp_lt_i16_sdwa s[8:9], v27, v4 src0_sel:BYTE_0 src1_sel:DWORD
	s_and_b64 vcc, exec, s[8:9]
	s_cbranch_vccnz .LBB21_931
; %bb.922:
	v_mov_b32_e32 v4, 9
	v_cmp_lt_i16_sdwa s[8:9], v27, v4 src0_sel:BYTE_0 src1_sel:DWORD
	s_and_b64 vcc, exec, s[8:9]
	s_cbranch_vccnz .LBB21_928
; %bb.923:
	v_cmp_gt_i16_sdwa s[8:9], v27, v4 src0_sel:BYTE_0 src1_sel:DWORD
	s_and_b64 vcc, exec, s[8:9]
	s_cbranch_vccz .LBB21_925
; %bb.924:
	v_mov_b32_e32 v6, 0
	v_cvt_f64_f32_e32 v[4:5], v20
	v_mov_b32_e32 v7, v6
	global_store_dwordx4 v[2:3], v[4:7], off
	s_mov_b64 s[4:5], 0
.LBB21_925:
	s_andn2_b64 vcc, exec, s[4:5]
	s_cbranch_vccnz .LBB21_927
; %bb.926:
	v_mov_b32_e32 v21, 0
	global_store_dwordx2 v[2:3], v[20:21], off
.LBB21_927:
	s_mov_b64 s[4:5], 0
.LBB21_928:
	s_andn2_b64 vcc, exec, s[4:5]
	s_cbranch_vccnz .LBB21_930
; %bb.929:
	v_cvt_f16_f32_e32 v4, v20
	global_store_dword v[2:3], v4, off
.LBB21_930:
	s_mov_b64 s[4:5], 0
.LBB21_931:
	s_andn2_b64 vcc, exec, s[4:5]
	s_cbranch_vccnz .LBB21_940
; %bb.932:
	v_mov_b32_e32 v4, 6
	v_cmp_lt_i16_sdwa s[8:9], v27, v4 src0_sel:BYTE_0 src1_sel:DWORD
	s_mov_b64 s[4:5], -1
	s_and_b64 vcc, exec, s[8:9]
	s_cbranch_vccnz .LBB21_938
; %bb.933:
	v_cmp_gt_i16_sdwa s[8:9], v27, v4 src0_sel:BYTE_0 src1_sel:DWORD
	s_and_b64 vcc, exec, s[8:9]
	s_cbranch_vccz .LBB21_935
; %bb.934:
	v_cvt_f64_f32_e32 v[4:5], v20
	global_store_dwordx2 v[2:3], v[4:5], off
	s_mov_b64 s[4:5], 0
.LBB21_935:
	s_andn2_b64 vcc, exec, s[4:5]
	s_cbranch_vccnz .LBB21_937
; %bb.936:
	global_store_dword v[2:3], v20, off
.LBB21_937:
	s_mov_b64 s[4:5], 0
.LBB21_938:
	s_andn2_b64 vcc, exec, s[4:5]
	s_cbranch_vccnz .LBB21_940
; %bb.939:
	v_cvt_f16_f32_e32 v4, v20
	global_store_short v[2:3], v4, off
.LBB21_940:
	s_mov_b64 s[4:5], 0
.LBB21_941:
	s_andn2_b64 vcc, exec, s[4:5]
	s_cbranch_vccnz .LBB21_957
; %bb.942:
	v_mov_b32_e32 v4, 2
	v_cmp_lt_i16_sdwa s[8:9], v27, v4 src0_sel:BYTE_0 src1_sel:DWORD
	s_mov_b64 s[4:5], -1
	s_and_b64 vcc, exec, s[8:9]
	s_cbranch_vccnz .LBB21_952
; %bb.943:
	v_mov_b32_e32 v4, 3
	v_cmp_lt_i16_sdwa s[8:9], v27, v4 src0_sel:BYTE_0 src1_sel:DWORD
	s_and_b64 vcc, exec, s[8:9]
	s_cbranch_vccnz .LBB21_949
; %bb.944:
	v_cmp_gt_i16_sdwa s[8:9], v27, v4 src0_sel:BYTE_0 src1_sel:DWORD
	s_and_b64 vcc, exec, s[8:9]
	s_cbranch_vccz .LBB21_946
; %bb.945:
	v_trunc_f32_e32 v4, v20
	s_mov_b32 s4, 0x2f800000
	v_mul_f32_e64 v5, |v4|, s4
	v_floor_f32_e32 v5, v5
	s_mov_b32 s4, 0xcf800000
	v_cvt_u32_f32_e32 v6, v5
	v_fma_f32 v5, v5, s4, |v4|
	v_cvt_u32_f32_e32 v5, v5
	v_ashrrev_i32_e32 v7, 31, v4
	v_xor_b32_e32 v6, v6, v7
	s_mov_b64 s[4:5], 0
	v_xor_b32_e32 v4, v5, v7
	v_sub_co_u32_e32 v4, vcc, v4, v7
	v_subb_co_u32_e32 v5, vcc, v6, v7, vcc
	global_store_dwordx2 v[2:3], v[4:5], off
.LBB21_946:
	s_andn2_b64 vcc, exec, s[4:5]
	s_cbranch_vccnz .LBB21_948
; %bb.947:
	v_cvt_i32_f32_e32 v4, v20
	global_store_dword v[2:3], v4, off
.LBB21_948:
	s_mov_b64 s[4:5], 0
.LBB21_949:
	s_andn2_b64 vcc, exec, s[4:5]
	s_cbranch_vccnz .LBB21_951
; %bb.950:
	v_cvt_i32_f32_e32 v4, v20
	global_store_short v[2:3], v4, off
.LBB21_951:
	s_mov_b64 s[4:5], 0
.LBB21_952:
	s_andn2_b64 vcc, exec, s[4:5]
	s_cbranch_vccnz .LBB21_957
; %bb.953:
	v_mov_b32_e32 v4, 0
	v_cmp_gt_i16_sdwa s[8:9], v27, v4 src0_sel:BYTE_0 src1_sel:DWORD
	s_mov_b64 s[4:5], -1
	s_and_b64 vcc, exec, s[8:9]
	s_cbranch_vccz .LBB21_955
; %bb.954:
	v_cvt_i32_f32_e32 v4, v20
	s_mov_b64 s[4:5], 0
	global_store_byte v[2:3], v4, off
.LBB21_955:
	s_andn2_b64 vcc, exec, s[4:5]
	s_cbranch_vccnz .LBB21_957
; %bb.956:
	v_trunc_f32_e32 v4, v20
	s_mov_b32 s4, 0x2f800000
	v_mul_f32_e64 v5, |v4|, s4
	v_floor_f32_e32 v5, v5
	s_mov_b32 s4, 0xcf800000
	v_fma_f32 v5, v5, s4, |v4|
	v_cvt_u32_f32_e32 v5, v5
	v_ashrrev_i32_e32 v4, 31, v4
	v_xor_b32_e32 v5, v5, v4
	v_sub_u32_e32 v4, v5, v4
	global_store_byte v[2:3], v4, off
.LBB21_957:
	s_branch .LBB21_764
.LBB21_958:
	s_mov_b64 s[4:5], 0
	s_mov_b64 s[8:9], 0
                                        ; implicit-def: $vgpr4
                                        ; implicit-def: $vgpr2_vgpr3
.LBB21_959:
	s_and_b64 s[34:35], s[8:9], exec
	s_andn2_b64 s[8:9], s[42:43], exec
	s_and_b64 s[6:7], s[6:7], exec
	s_and_b64 s[4:5], s[4:5], exec
	s_or_b64 s[42:43], s[8:9], s[6:7]
.LBB21_960:
	s_or_b64 exec, exec, s[40:41]
	s_and_saveexec_b64 s[6:7], s[42:43]
	s_cbranch_execz .LBB21_963
; %bb.961:
	; divergent unreachable
	s_or_b64 exec, exec, s[6:7]
	s_and_saveexec_b64 s[6:7], s[34:35]
	s_xor_b64 s[6:7], exec, s[6:7]
	s_cbranch_execnz .LBB21_964
.LBB21_962:
	s_or_b64 exec, exec, s[6:7]
	s_and_saveexec_b64 s[6:7], s[4:5]
	s_cbranch_execnz .LBB21_965
	s_branch .LBB21_1002
.LBB21_963:
	s_or_b64 exec, exec, s[6:7]
	s_and_saveexec_b64 s[6:7], s[34:35]
	s_xor_b64 s[6:7], exec, s[6:7]
	s_cbranch_execz .LBB21_962
.LBB21_964:
	v_cmp_neq_f32_e32 vcc, 0, v0
	v_cndmask_b32_e64 v1, 0, 1, vcc
	global_store_byte v[2:3], v1, off
	s_or_b64 exec, exec, s[6:7]
	s_and_saveexec_b64 s[6:7], s[4:5]
	s_cbranch_execz .LBB21_1002
.LBB21_965:
	v_cmp_gt_i16_e32 vcc, 5, v4
	s_mov_b64 s[4:5], -1
	s_cbranch_vccnz .LBB21_986
; %bb.966:
	v_cmp_gt_i16_e32 vcc, 8, v4
	s_cbranch_vccnz .LBB21_976
; %bb.967:
	v_cmp_gt_i16_e32 vcc, 9, v4
	s_cbranch_vccnz .LBB21_973
; %bb.968:
	v_cmp_lt_i16_e32 vcc, 9, v4
	s_cbranch_vccz .LBB21_970
; %bb.969:
	v_mov_b32_e32 v8, 0
	v_cvt_f64_f32_e32 v[6:7], v0
	v_mov_b32_e32 v9, v8
	global_store_dwordx4 v[2:3], v[6:9], off
	s_mov_b64 s[4:5], 0
.LBB21_970:
	s_andn2_b64 vcc, exec, s[4:5]
	s_cbranch_vccnz .LBB21_972
; %bb.971:
	v_mov_b32_e32 v1, 0
	global_store_dwordx2 v[2:3], v[0:1], off
.LBB21_972:
	s_mov_b64 s[4:5], 0
.LBB21_973:
	s_andn2_b64 vcc, exec, s[4:5]
	s_cbranch_vccnz .LBB21_975
; %bb.974:
	v_cvt_f16_f32_e32 v1, v0
	global_store_dword v[2:3], v1, off
.LBB21_975:
	s_mov_b64 s[4:5], 0
.LBB21_976:
	s_andn2_b64 vcc, exec, s[4:5]
	s_cbranch_vccnz .LBB21_985
; %bb.977:
	v_cmp_gt_i16_e32 vcc, 6, v4
	s_mov_b64 s[4:5], -1
	s_cbranch_vccnz .LBB21_983
; %bb.978:
	v_cmp_lt_i16_e32 vcc, 6, v4
	s_cbranch_vccz .LBB21_980
; %bb.979:
	v_cvt_f64_f32_e32 v[6:7], v0
	global_store_dwordx2 v[2:3], v[6:7], off
	s_mov_b64 s[4:5], 0
.LBB21_980:
	s_andn2_b64 vcc, exec, s[4:5]
	s_cbranch_vccnz .LBB21_982
; %bb.981:
	global_store_dword v[2:3], v0, off
.LBB21_982:
	s_mov_b64 s[4:5], 0
.LBB21_983:
	s_andn2_b64 vcc, exec, s[4:5]
	s_cbranch_vccnz .LBB21_985
; %bb.984:
	v_cvt_f16_f32_e32 v1, v0
	global_store_short v[2:3], v1, off
.LBB21_985:
	s_mov_b64 s[4:5], 0
.LBB21_986:
	s_andn2_b64 vcc, exec, s[4:5]
	s_cbranch_vccnz .LBB21_1002
; %bb.987:
	v_cmp_gt_i16_e32 vcc, 2, v4
	s_mov_b64 s[4:5], -1
	s_cbranch_vccnz .LBB21_997
; %bb.988:
	v_cmp_gt_i16_e32 vcc, 3, v4
	s_cbranch_vccnz .LBB21_994
; %bb.989:
	v_cmp_lt_i16_e32 vcc, 3, v4
	s_cbranch_vccz .LBB21_991
; %bb.990:
	v_trunc_f32_e32 v1, v0
	s_mov_b32 s4, 0x2f800000
	v_mul_f32_e64 v5, |v1|, s4
	v_floor_f32_e32 v5, v5
	s_mov_b32 s4, 0xcf800000
	v_cvt_u32_f32_e32 v6, v5
	v_fma_f32 v5, v5, s4, |v1|
	v_cvt_u32_f32_e32 v5, v5
	v_ashrrev_i32_e32 v1, 31, v1
	v_xor_b32_e32 v7, v6, v1
	s_mov_b64 s[4:5], 0
	v_xor_b32_e32 v5, v5, v1
	v_sub_co_u32_e32 v6, vcc, v5, v1
	v_subb_co_u32_e32 v7, vcc, v7, v1, vcc
	global_store_dwordx2 v[2:3], v[6:7], off
.LBB21_991:
	s_andn2_b64 vcc, exec, s[4:5]
	s_cbranch_vccnz .LBB21_993
; %bb.992:
	v_cvt_i32_f32_e32 v1, v0
	global_store_dword v[2:3], v1, off
.LBB21_993:
	s_mov_b64 s[4:5], 0
.LBB21_994:
	s_andn2_b64 vcc, exec, s[4:5]
	s_cbranch_vccnz .LBB21_996
; %bb.995:
	v_cvt_i32_f32_e32 v1, v0
	global_store_short v[2:3], v1, off
.LBB21_996:
	s_mov_b64 s[4:5], 0
.LBB21_997:
	s_andn2_b64 vcc, exec, s[4:5]
	s_cbranch_vccnz .LBB21_1002
; %bb.998:
	v_cmp_lt_i16_e32 vcc, 0, v4
	s_mov_b64 s[4:5], -1
	s_cbranch_vccz .LBB21_1000
; %bb.999:
	v_cvt_i32_f32_e32 v1, v0
	s_mov_b64 s[4:5], 0
	global_store_byte v[2:3], v1, off
.LBB21_1000:
	s_andn2_b64 vcc, exec, s[4:5]
	s_cbranch_vccnz .LBB21_1002
; %bb.1001:
	v_trunc_f32_e32 v0, v0
	s_mov_b32 s4, 0x2f800000
	v_mul_f32_e64 v1, |v0|, s4
	v_floor_f32_e32 v1, v1
	s_mov_b32 s4, 0xcf800000
	v_fma_f32 v1, v1, s4, |v0|
	v_cvt_u32_f32_e32 v1, v1
	v_ashrrev_i32_e32 v0, 31, v0
	v_xor_b32_e32 v1, v1, v0
	v_sub_u32_e32 v0, v1, v0
	global_store_byte v[2:3], v0, off
	s_endpgm
.LBB21_1002:
	s_endpgm
.LBB21_1003:
	s_or_saveexec_b64 s[14:15], s[14:15]
                                        ; implicit-def: $sgpr17
	s_xor_b64 exec, exec, s[14:15]
	s_cbranch_execz .LBB21_870
.LBB21_1004:
	s_mov_b32 s17, 0x46000000
	v_add_f32_e64 v4, |v20|, s17
	v_and_b32_e32 v4, 0xff, v4
	v_cmp_ne_u32_e32 vcc, 0, v4
	s_andn2_b64 s[12:13], s[12:13], exec
	s_and_b64 s[18:19], vcc, exec
	s_mov_b32 s17, 0
	s_or_b64 s[12:13], s[12:13], s[18:19]
	s_or_b64 exec, exec, s[14:15]
	v_mov_b32_e32 v5, s17
	s_and_saveexec_b64 s[14:15], s[12:13]
	s_cbranch_execnz .LBB21_871
	s_branch .LBB21_872
.LBB21_1005:
	s_trap 2
	s_or_b64 s[6:7], s[6:7], exec
	s_cbranch_execz .LBB21_918
	s_branch .LBB21_919
.LBB21_1006:
	s_or_saveexec_b64 s[10:11], s[10:11]
                                        ; implicit-def: $sgpr12
	s_xor_b64 exec, exec, s[10:11]
	s_cbranch_execz .LBB21_295
.LBB21_1007:
	s_mov_b32 s12, 0x46000000
	v_add_f32_e64 v1, |v0|, s12
	v_and_b32_e32 v1, 0xff, v1
	v_cmp_ne_u32_e32 vcc, 0, v1
	s_andn2_b64 s[8:9], s[8:9], exec
	s_and_b64 s[14:15], vcc, exec
	s_mov_b32 s12, 0
	s_or_b64 s[8:9], s[8:9], s[14:15]
	s_or_b64 exec, exec, s[10:11]
	v_mov_b32_e32 v4, s12
	s_and_saveexec_b64 s[10:11], s[8:9]
	s_cbranch_execnz .LBB21_296
	s_branch .LBB21_297
.LBB21_1008:
	s_or_saveexec_b64 s[14:15], s[14:15]
                                        ; implicit-def: $sgpr16
	s_xor_b64 exec, exec, s[14:15]
	s_cbranch_execz .LBB21_793
.LBB21_1009:
	s_mov_b32 s16, 0x46000000
	v_add_f32_e64 v1, |v0|, s16
	v_and_b32_e32 v1, 0xff, v1
	v_cmp_ne_u32_e32 vcc, 0, v1
	s_andn2_b64 s[12:13], s[12:13], exec
	s_and_b64 s[18:19], vcc, exec
	s_mov_b32 s16, 0
	s_or_b64 s[12:13], s[12:13], s[18:19]
	s_or_b64 exec, exec, s[14:15]
	v_mov_b32_e32 v5, s16
	s_and_saveexec_b64 s[14:15], s[12:13]
	s_cbranch_execnz .LBB21_794
	s_branch .LBB21_795
.LBB21_1010:
	s_or_saveexec_b64 s[12:13], s[12:13]
                                        ; implicit-def: $sgpr14
	s_xor_b64 exec, exec, s[12:13]
	s_cbranch_execz .LBB21_883
.LBB21_1011:
	s_mov_b32 s14, 0x42800000
	v_add_f32_e64 v4, |v20|, s14
	v_and_b32_e32 v4, 0xff, v4
	v_cmp_ne_u32_e32 vcc, 0, v4
	s_andn2_b64 s[10:11], s[10:11], exec
	s_and_b64 s[18:19], vcc, exec
	s_mov_b32 s14, 0
	s_or_b64 s[10:11], s[10:11], s[18:19]
	s_or_b64 exec, exec, s[12:13]
	v_mov_b32_e32 v5, s14
	s_and_saveexec_b64 s[12:13], s[10:11]
	s_cbranch_execnz .LBB21_884
	s_branch .LBB21_885
.LBB21_1012:
	s_mov_b64 s[8:9], 0
	s_or_b64 s[6:7], s[6:7], exec
	s_trap 2
	s_branch .LBB21_839
.LBB21_1013:
	s_or_saveexec_b64 s[10:11], s[10:11]
                                        ; implicit-def: $sgpr12
	s_xor_b64 exec, exec, s[10:11]
	s_cbranch_execz .LBB21_308
.LBB21_1014:
	s_mov_b32 s12, 0x42800000
	v_add_f32_e64 v1, |v0|, s12
	v_and_b32_e32 v1, 0xff, v1
	v_cmp_ne_u32_e32 vcc, 0, v1
	s_andn2_b64 s[8:9], s[8:9], exec
	s_and_b64 s[14:15], vcc, exec
	s_mov_b32 s12, 0
	s_or_b64 s[8:9], s[8:9], s[14:15]
	s_or_b64 exec, exec, s[10:11]
	v_mov_b32_e32 v4, s12
	s_and_saveexec_b64 s[10:11], s[8:9]
	s_cbranch_execnz .LBB21_309
	s_branch .LBB21_310
.LBB21_1015:
	s_or_saveexec_b64 s[10:11], s[10:11]
                                        ; implicit-def: $sgpr12
	s_xor_b64 exec, exec, s[10:11]
	s_cbranch_execz .LBB21_418
.LBB21_1016:
	s_mov_b32 s12, 0x46000000
	v_add_f32_e64 v1, |v0|, s12
	v_and_b32_e32 v1, 0xff, v1
	v_cmp_ne_u32_e32 vcc, 0, v1
	s_andn2_b64 s[8:9], s[8:9], exec
	s_and_b64 s[14:15], vcc, exec
	s_mov_b32 s12, 0
	s_or_b64 s[8:9], s[8:9], s[14:15]
	s_or_b64 exec, exec, s[10:11]
	v_mov_b32_e32 v5, s12
	s_and_saveexec_b64 s[10:11], s[8:9]
	s_cbranch_execnz .LBB21_419
	s_branch .LBB21_420
.LBB21_1017:
	s_or_saveexec_b64 s[12:13], s[12:13]
                                        ; implicit-def: $sgpr14
	s_xor_b64 exec, exec, s[12:13]
	s_cbranch_execz .LBB21_805
.LBB21_1018:
	s_mov_b32 s14, 0x42800000
	v_add_f32_e64 v1, |v0|, s14
	v_and_b32_e32 v1, 0xff, v1
	v_cmp_ne_u32_e32 vcc, 0, v1
	s_andn2_b64 s[10:11], s[10:11], exec
	s_and_b64 s[16:17], vcc, exec
	s_mov_b32 s14, 0
	s_or_b64 s[10:11], s[10:11], s[16:17]
	s_or_b64 exec, exec, s[12:13]
	v_mov_b32_e32 v5, s14
	s_and_saveexec_b64 s[12:13], s[10:11]
	s_cbranch_execnz .LBB21_806
	s_branch .LBB21_807
.LBB21_1019:
	s_or_saveexec_b64 s[12:13], s[12:13]
                                        ; implicit-def: $sgpr14
	s_xor_b64 exec, exec, s[12:13]
	s_cbranch_execz .LBB21_430
.LBB21_1020:
	s_mov_b32 s14, 0x42800000
	v_add_f32_e64 v1, |v0|, s14
	v_and_b32_e32 v1, 0xff, v1
	v_cmp_ne_u32_e32 vcc, 0, v1
	s_andn2_b64 s[10:11], s[10:11], exec
	s_and_b64 s[16:17], vcc, exec
	s_mov_b32 s14, 0
	s_or_b64 s[10:11], s[10:11], s[16:17]
	s_or_b64 exec, exec, s[12:13]
	v_mov_b32_e32 v5, s14
	s_and_saveexec_b64 s[12:13], s[10:11]
	s_cbranch_execnz .LBB21_431
	s_branch .LBB21_432
	.section	.rodata,"a",@progbits
	.p2align	6, 0x0
	.amdhsa_kernel _ZN2at6native32elementwise_kernel_manual_unrollILi128ELi4EZNS0_15gpu_kernel_implIZZZNS0_12_GLOBAL__N_130modified_bessel_k0_kernel_cudaERNS_18TensorIteratorBaseEENKUlvE_clEvENKUlvE0_clEvEUlfE_EEvS5_RKT_EUlibE_EEviT1_
		.amdhsa_group_segment_fixed_size 0
		.amdhsa_private_segment_fixed_size 0
		.amdhsa_kernarg_size 40
		.amdhsa_user_sgpr_count 8
		.amdhsa_user_sgpr_private_segment_buffer 1
		.amdhsa_user_sgpr_dispatch_ptr 0
		.amdhsa_user_sgpr_queue_ptr 0
		.amdhsa_user_sgpr_kernarg_segment_ptr 1
		.amdhsa_user_sgpr_dispatch_id 0
		.amdhsa_user_sgpr_flat_scratch_init 1
		.amdhsa_user_sgpr_kernarg_preload_length 0
		.amdhsa_user_sgpr_kernarg_preload_offset 0
		.amdhsa_user_sgpr_private_segment_size 0
		.amdhsa_uses_dynamic_stack 0
		.amdhsa_system_sgpr_private_segment_wavefront_offset 0
		.amdhsa_system_sgpr_workgroup_id_x 1
		.amdhsa_system_sgpr_workgroup_id_y 0
		.amdhsa_system_sgpr_workgroup_id_z 0
		.amdhsa_system_sgpr_workgroup_info 0
		.amdhsa_system_vgpr_workitem_id 0
		.amdhsa_next_free_vgpr 28
		.amdhsa_next_free_sgpr 56
		.amdhsa_accum_offset 28
		.amdhsa_reserve_vcc 1
		.amdhsa_reserve_flat_scratch 1
		.amdhsa_float_round_mode_32 0
		.amdhsa_float_round_mode_16_64 0
		.amdhsa_float_denorm_mode_32 3
		.amdhsa_float_denorm_mode_16_64 3
		.amdhsa_dx10_clamp 1
		.amdhsa_ieee_mode 1
		.amdhsa_fp16_overflow 0
		.amdhsa_tg_split 0
		.amdhsa_exception_fp_ieee_invalid_op 0
		.amdhsa_exception_fp_denorm_src 0
		.amdhsa_exception_fp_ieee_div_zero 0
		.amdhsa_exception_fp_ieee_overflow 0
		.amdhsa_exception_fp_ieee_underflow 0
		.amdhsa_exception_fp_ieee_inexact 0
		.amdhsa_exception_int_div_zero 0
	.end_amdhsa_kernel
	.section	.text._ZN2at6native32elementwise_kernel_manual_unrollILi128ELi4EZNS0_15gpu_kernel_implIZZZNS0_12_GLOBAL__N_130modified_bessel_k0_kernel_cudaERNS_18TensorIteratorBaseEENKUlvE_clEvENKUlvE0_clEvEUlfE_EEvS5_RKT_EUlibE_EEviT1_,"axG",@progbits,_ZN2at6native32elementwise_kernel_manual_unrollILi128ELi4EZNS0_15gpu_kernel_implIZZZNS0_12_GLOBAL__N_130modified_bessel_k0_kernel_cudaERNS_18TensorIteratorBaseEENKUlvE_clEvENKUlvE0_clEvEUlfE_EEvS5_RKT_EUlibE_EEviT1_,comdat
.Lfunc_end21:
	.size	_ZN2at6native32elementwise_kernel_manual_unrollILi128ELi4EZNS0_15gpu_kernel_implIZZZNS0_12_GLOBAL__N_130modified_bessel_k0_kernel_cudaERNS_18TensorIteratorBaseEENKUlvE_clEvENKUlvE0_clEvEUlfE_EEvS5_RKT_EUlibE_EEviT1_, .Lfunc_end21-_ZN2at6native32elementwise_kernel_manual_unrollILi128ELi4EZNS0_15gpu_kernel_implIZZZNS0_12_GLOBAL__N_130modified_bessel_k0_kernel_cudaERNS_18TensorIteratorBaseEENKUlvE_clEvENKUlvE0_clEvEUlfE_EEvS5_RKT_EUlibE_EEviT1_
                                        ; -- End function
	.section	.AMDGPU.csdata,"",@progbits
; Kernel info:
; codeLenInByte = 18804
; NumSgprs: 62
; NumVgprs: 28
; NumAgprs: 0
; TotalNumVgprs: 28
; ScratchSize: 0
; MemoryBound: 0
; FloatMode: 240
; IeeeMode: 1
; LDSByteSize: 0 bytes/workgroup (compile time only)
; SGPRBlocks: 7
; VGPRBlocks: 3
; NumSGPRsForWavesPerEU: 62
; NumVGPRsForWavesPerEU: 28
; AccumOffset: 28
; Occupancy: 8
; WaveLimiterHint : 0
; COMPUTE_PGM_RSRC2:SCRATCH_EN: 0
; COMPUTE_PGM_RSRC2:USER_SGPR: 8
; COMPUTE_PGM_RSRC2:TRAP_HANDLER: 0
; COMPUTE_PGM_RSRC2:TGID_X_EN: 1
; COMPUTE_PGM_RSRC2:TGID_Y_EN: 0
; COMPUTE_PGM_RSRC2:TGID_Z_EN: 0
; COMPUTE_PGM_RSRC2:TIDIG_COMP_CNT: 0
; COMPUTE_PGM_RSRC3_GFX90A:ACCUM_OFFSET: 6
; COMPUTE_PGM_RSRC3_GFX90A:TG_SPLIT: 0
	.text
	.p2align	2                               ; -- Begin function _ZN2at6native6invokeIZZZNS0_12_GLOBAL__N_130modified_bessel_k0_kernel_cudaERNS_18TensorIteratorBaseEENKUlvE_clEvENKUlvE0_clEvEUlfE_j15function_traitsIS7_EEENT1_11result_typeERKT_PrKPcPKT0_PKN3c1010ScalarTypeEi
	.type	_ZN2at6native6invokeIZZZNS0_12_GLOBAL__N_130modified_bessel_k0_kernel_cudaERNS_18TensorIteratorBaseEENKUlvE_clEvENKUlvE0_clEvEUlfE_j15function_traitsIS7_EEENT1_11result_typeERKT_PrKPcPKT0_PKN3c1010ScalarTypeEi,@function
_ZN2at6native6invokeIZZZNS0_12_GLOBAL__N_130modified_bessel_k0_kernel_cudaERNS_18TensorIteratorBaseEENKUlvE_clEvENKUlvE0_clEvEUlfE_j15function_traitsIS7_EEENT1_11result_typeERKT_PrKPcPKT0_PKN3c1010ScalarTypeEi: ; @_ZN2at6native6invokeIZZZNS0_12_GLOBAL__N_130modified_bessel_k0_kernel_cudaERNS_18TensorIteratorBaseEENKUlvE_clEvENKUlvE0_clEvEUlfE_j15function_traitsIS7_EEENT1_11result_typeERKT_PrKPcPKT0_PKN3c1010ScalarTypeEi
; %bb.0:
	s_waitcnt vmcnt(0) expcnt(0) lgkmcnt(0)
	v_add_co_u32_e32 v0, vcc, v0, v2
	v_mov_b32_e32 v2, 10
	v_addc_co_u32_e32 v1, vcc, 0, v1, vcc
	v_cmp_gt_i16_sdwa s[4:5], v3, v2 src0_sel:BYTE_0 src1_sel:DWORD
	s_mov_b64 s[8:9], 0
                                        ; implicit-def: $vgpr2
	s_and_saveexec_b64 s[6:7], s[4:5]
	s_xor_b64 s[4:5], exec, s[6:7]
	s_cbranch_execnz .LBB22_4
; %bb.1:
	s_andn2_saveexec_b64 s[4:5], s[4:5]
	s_cbranch_execnz .LBB22_10
.LBB22_2:
	s_or_b64 exec, exec, s[4:5]
                                        ; implicit-def: $vgpr0
	s_and_saveexec_b64 s[6:7], s[8:9]
	s_cbranch_execnz .LBB22_51
.LBB22_3:
	s_or_b64 exec, exec, s[6:7]
	s_waitcnt vmcnt(0) lgkmcnt(0)
	s_setpc_b64 s[30:31]
.LBB22_4:
	v_mov_b32_e32 v2, 25
	v_cmp_gt_i16_sdwa s[10:11], v3, v2 src0_sel:BYTE_0 src1_sel:DWORD
	s_mov_b64 s[6:7], 0
	s_mov_b64 s[12:13], 0
                                        ; implicit-def: $vgpr2
	s_and_saveexec_b64 s[14:15], s[10:11]
	s_xor_b64 s[10:11], exec, s[14:15]
	s_cbranch_execnz .LBB22_64
; %bb.5:
	s_andn2_saveexec_b64 s[10:11], s[10:11]
	s_cbranch_execnz .LBB22_95
.LBB22_6:
	s_or_b64 exec, exec, s[10:11]
	s_and_saveexec_b64 s[10:11], s[12:13]
	s_cbranch_execnz .LBB22_118
.LBB22_7:
	s_or_b64 exec, exec, s[10:11]
	s_and_saveexec_b64 s[10:11], s[6:7]
	s_xor_b64 s[6:7], exec, s[10:11]
	s_cbranch_execz .LBB22_9
.LBB22_8:
	flat_load_ubyte v0, v[0:1]
	s_or_b64 s[8:9], s[8:9], exec
	s_waitcnt vmcnt(0) lgkmcnt(0)
	v_cmp_ne_u16_e32 vcc, 0, v0
	v_cndmask_b32_e64 v2, 0, 1.0, vcc
.LBB22_9:
	s_or_b64 exec, exec, s[6:7]
	s_and_b64 s[8:9], s[8:9], exec
                                        ; implicit-def: $vgpr3
                                        ; implicit-def: $vgpr0_vgpr1
	s_andn2_saveexec_b64 s[4:5], s[4:5]
	s_cbranch_execz .LBB22_2
.LBB22_10:
	v_mov_b32_e32 v2, 4
	v_cmp_gt_i16_sdwa s[6:7], v3, v2 src0_sel:BYTE_0 src1_sel:DWORD
                                        ; implicit-def: $vgpr2
	s_and_saveexec_b64 s[10:11], s[6:7]
	s_xor_b64 s[6:7], exec, s[10:11]
	s_cbranch_execz .LBB22_32
; %bb.11:
	v_mov_b32_e32 v2, 7
	v_cmp_gt_i16_sdwa s[10:11], v3, v2 src0_sel:BYTE_0 src1_sel:DWORD
                                        ; implicit-def: $vgpr2
	s_and_saveexec_b64 s[12:13], s[10:11]
	s_xor_b64 s[10:11], exec, s[12:13]
	s_cbranch_execz .LBB22_21
; %bb.12:
	;; [unrolled: 7-line block ×4, first 2 shown]
	flat_load_dwordx2 v[0:1], v[0:1]
	s_waitcnt vmcnt(0) lgkmcnt(0)
	v_cvt_f32_f64_e32 v2, v[0:1]
                                        ; implicit-def: $vgpr0_vgpr1
.LBB22_15:
	s_andn2_saveexec_b64 s[14:15], s[14:15]
	s_cbranch_execz .LBB22_17
; %bb.16:
	flat_load_dword v2, v[0:1]
.LBB22_17:
	s_or_b64 exec, exec, s[14:15]
                                        ; implicit-def: $vgpr0_vgpr1
.LBB22_18:
	s_andn2_saveexec_b64 s[12:13], s[12:13]
	s_cbranch_execz .LBB22_20
; %bb.19:
	flat_load_dword v0, v[0:1]
	s_waitcnt vmcnt(0) lgkmcnt(0)
	v_cvt_f32_f16_e32 v2, v0
.LBB22_20:
	s_or_b64 exec, exec, s[12:13]
                                        ; implicit-def: $vgpr0_vgpr1
                                        ; implicit-def: $vgpr3
.LBB22_21:
	s_andn2_saveexec_b64 s[10:11], s[10:11]
	s_cbranch_execz .LBB22_31
; %bb.22:
	s_waitcnt vmcnt(0) lgkmcnt(0)
	v_mov_b32_e32 v2, 5
	v_cmp_gt_i16_sdwa s[12:13], v3, v2 src0_sel:BYTE_0 src1_sel:DWORD
                                        ; implicit-def: $vgpr2
	s_and_saveexec_b64 s[14:15], s[12:13]
	s_xor_b64 s[12:13], exec, s[14:15]
	s_cbranch_execz .LBB22_28
; %bb.23:
	v_mov_b32_e32 v2, 6
	v_cmp_gt_i16_sdwa s[14:15], v3, v2 src0_sel:BYTE_0 src1_sel:DWORD
                                        ; implicit-def: $vgpr2
	s_and_saveexec_b64 s[16:17], s[14:15]
	s_xor_b64 s[14:15], exec, s[16:17]
	s_cbranch_execz .LBB22_25
; %bb.24:
	flat_load_dwordx2 v[0:1], v[0:1]
	s_waitcnt vmcnt(0) lgkmcnt(0)
	v_cvt_f32_f64_e32 v2, v[0:1]
                                        ; implicit-def: $vgpr0_vgpr1
.LBB22_25:
	s_andn2_saveexec_b64 s[14:15], s[14:15]
	s_cbranch_execz .LBB22_27
; %bb.26:
	flat_load_dword v2, v[0:1]
.LBB22_27:
	s_or_b64 exec, exec, s[14:15]
                                        ; implicit-def: $vgpr0_vgpr1
.LBB22_28:
	s_andn2_saveexec_b64 s[12:13], s[12:13]
	s_cbranch_execz .LBB22_30
; %bb.29:
	flat_load_ushort v0, v[0:1]
	s_waitcnt vmcnt(0) lgkmcnt(0)
	v_cvt_f32_f16_e32 v2, v0
.LBB22_30:
	s_or_b64 exec, exec, s[12:13]
.LBB22_31:
	s_or_b64 exec, exec, s[10:11]
                                        ; implicit-def: $vgpr3
                                        ; implicit-def: $vgpr0_vgpr1
.LBB22_32:
	s_andn2_saveexec_b64 s[6:7], s[6:7]
	s_cbranch_execz .LBB22_50
; %bb.33:
	s_waitcnt vmcnt(0) lgkmcnt(0)
	v_mov_b32_e32 v2, 1
	v_cmp_gt_i16_sdwa s[10:11], v3, v2 src0_sel:BYTE_0 src1_sel:DWORD
                                        ; implicit-def: $vgpr2
	s_and_saveexec_b64 s[12:13], s[10:11]
	s_xor_b64 s[10:11], exec, s[12:13]
	s_cbranch_execz .LBB22_43
; %bb.34:
	v_mov_b32_e32 v2, 2
	v_cmp_gt_i16_sdwa s[12:13], v3, v2 src0_sel:BYTE_0 src1_sel:DWORD
                                        ; implicit-def: $vgpr2
	s_and_saveexec_b64 s[14:15], s[12:13]
	s_xor_b64 s[12:13], exec, s[14:15]
	s_cbranch_execz .LBB22_40
; %bb.35:
	;; [unrolled: 7-line block ×3, first 2 shown]
	flat_load_dwordx2 v[0:1], v[0:1]
	s_waitcnt vmcnt(0) lgkmcnt(0)
	v_xor_b32_e32 v3, v0, v1
	v_ffbh_i32_e32 v2, v1
	v_ashrrev_i32_e32 v3, 31, v3
	v_add_u32_e32 v2, -1, v2
	v_add_u32_e32 v3, 32, v3
	v_min_u32_e32 v2, v2, v3
	v_lshlrev_b64 v[0:1], v2, v[0:1]
	v_min_u32_e32 v0, 1, v0
	v_or_b32_e32 v0, v1, v0
	v_cvt_f32_i32_e32 v0, v0
	v_sub_u32_e32 v1, 32, v2
	v_ldexp_f32 v2, v0, v1
                                        ; implicit-def: $vgpr0_vgpr1
.LBB22_37:
	s_andn2_saveexec_b64 s[14:15], s[14:15]
	s_cbranch_execz .LBB22_39
; %bb.38:
	flat_load_dword v0, v[0:1]
	s_waitcnt vmcnt(0) lgkmcnt(0)
	v_cvt_f32_i32_e32 v2, v0
.LBB22_39:
	s_or_b64 exec, exec, s[14:15]
                                        ; implicit-def: $vgpr0_vgpr1
.LBB22_40:
	s_andn2_saveexec_b64 s[12:13], s[12:13]
	s_cbranch_execz .LBB22_42
; %bb.41:
	flat_load_sshort v0, v[0:1]
	s_waitcnt vmcnt(0) lgkmcnt(0)
	v_cvt_f32_i32_e32 v2, v0
.LBB22_42:
	s_or_b64 exec, exec, s[12:13]
                                        ; implicit-def: $vgpr0_vgpr1
                                        ; implicit-def: $vgpr3
.LBB22_43:
	s_andn2_saveexec_b64 s[10:11], s[10:11]
	s_cbranch_execz .LBB22_49
; %bb.44:
	v_mov_b32_e32 v2, 0
	v_cmp_gt_i16_sdwa s[12:13], v3, v2 src0_sel:BYTE_0 src1_sel:DWORD
                                        ; implicit-def: $vgpr2
	s_and_saveexec_b64 s[14:15], s[12:13]
	s_xor_b64 s[12:13], exec, s[14:15]
	s_cbranch_execz .LBB22_46
; %bb.45:
	flat_load_sbyte v0, v[0:1]
	s_waitcnt vmcnt(0) lgkmcnt(0)
	v_cvt_f32_i32_e32 v2, v0
                                        ; implicit-def: $vgpr0_vgpr1
.LBB22_46:
	s_andn2_saveexec_b64 s[12:13], s[12:13]
	s_cbranch_execz .LBB22_48
; %bb.47:
	flat_load_ubyte v0, v[0:1]
	s_waitcnt vmcnt(0) lgkmcnt(0)
	v_cvt_f32_ubyte0_e32 v2, v0
.LBB22_48:
	s_or_b64 exec, exec, s[12:13]
.LBB22_49:
	s_or_b64 exec, exec, s[10:11]
.LBB22_50:
	s_or_b64 exec, exec, s[6:7]
	s_or_b64 s[8:9], s[8:9], exec
	s_or_b64 exec, exec, s[4:5]
                                        ; implicit-def: $vgpr0
	s_and_saveexec_b64 s[6:7], s[8:9]
	s_cbranch_execz .LBB22_3
.LBB22_51:
	s_waitcnt vmcnt(0) lgkmcnt(0)
	v_cmp_neq_f32_e32 vcc, 0, v2
	v_mov_b32_e32 v0, 0x7f800000
	s_and_saveexec_b64 s[8:9], vcc
	s_cbranch_execz .LBB22_63
; %bb.52:
	v_cmp_ngt_f32_e32 vcc, 0, v2
	v_mov_b32_e32 v0, 0x7fc00000
	s_and_saveexec_b64 s[10:11], vcc
	s_cbranch_execz .LBB22_62
; %bb.53:
	v_cmp_ge_f32_e32 vcc, 2.0, v2
                                        ; implicit-def: $vgpr0
	s_and_saveexec_b64 s[4:5], vcc
	s_xor_b64 s[12:13], exec, s[4:5]
	s_cbranch_execz .LBB22_59
; %bb.54:
	s_mov_b32 s4, 0x41000000
	v_cmp_ge_f32_e32 vcc, s4, v2
                                        ; implicit-def: $vgpr4
	s_and_saveexec_b64 s[4:5], vcc
	s_xor_b64 s[4:5], exec, s[4:5]
	s_cbranch_execz .LBB22_56
; %bb.55:
	v_fma_f32 v0, v2, 0.5, -2.0
	v_mov_b32_e32 v1, 0x24199b15
	v_fmac_f32_e32 v1, 0xa2a2e5b9, v0
	v_mov_b32_e32 v3, 0x22a2e5b9
	v_fmac_f32_e32 v3, v0, v1
	v_add_f32_e32 v3, 0xa58c275c, v3
	v_fma_f32 v1, v0, v3, -v1
	v_add_f32_e32 v1, 0x26f736c5, v1
	v_fma_f32 v3, v0, v1, -v3
	;; [unrolled: 2-line block ×23, first 2 shown]
	v_mul_f32_e32 v4, 0x3fb8aa3b, v2
	v_add_f32_e32 v1, 0x3d49f456, v1
	s_mov_b32 s14, 0x3fb8aa3b
	v_rndne_f32_e32 v5, v4
	v_fma_f32 v3, v0, v1, -v3
	v_sub_f32_e32 v6, v4, v5
	v_fma_f32 v4, v2, s14, -v4
	v_add_f32_e32 v3, 0xbdc25b82, v3
	v_fmac_f32_e32 v4, 0x32a5705f, v2
	v_fma_f32 v1, v0, v3, -v1
	v_add_f32_e32 v4, v6, v4
	v_add_f32_e32 v1, 0x3e2fbd64, v1
	v_exp_f32_e32 v4, v4
	v_cvt_i32_f32_e32 v5, v5
	v_fma_f32 v3, v0, v1, -v3
	v_add_f32_e32 v3, 0xbe9bff5e, v3
	v_fma_f32 v0, v0, v3, -v1
	s_mov_b32 s14, 0xc2ce8ed0
	v_add_f32_e32 v0, 0x3f2d4275, v0
	v_ldexp_f32 v3, v4, v5
	v_cmp_ngt_f32_e32 vcc, s14, v2
	s_mov_b32 s14, 0x42b17218
	v_cndmask_b32_e32 v3, 0, v3, vcc
	v_mov_b32_e32 v4, 0x7f800000
	v_cmp_nlt_f32_e32 vcc, s14, v2
	v_sub_f32_e32 v0, v0, v1
	v_cndmask_b32_e32 v3, v4, v3, vcc
	v_mul_f32_e32 v0, 0.5, v0
	v_mul_f32_e32 v4, v3, v0
.LBB22_56:
	s_andn2_saveexec_b64 s[14:15], s[4:5]
	s_cbranch_execz .LBB22_58
; %bb.57:
	s_mov_b32 s16, 0x42000000
	v_div_scale_f32 v0, s[4:5], v2, v2, s16
	v_rcp_f32_e32 v1, v0
	v_div_scale_f32 v3, vcc, s16, v2, s16
	s_mov_b32 s4, 0x3fb8aa3b
	v_fma_f32 v4, -v0, v1, 1.0
	v_fmac_f32_e32 v1, v4, v1
	v_mul_f32_e32 v4, v3, v1
	v_fma_f32 v5, -v0, v4, v3
	v_fmac_f32_e32 v4, v5, v1
	v_fma_f32 v0, -v0, v4, v3
	v_div_fmas_f32 v0, v0, v1, v4
	v_div_fixup_f32 v0, v0, v2, s16
	v_add_f32_e32 v0, -2.0, v0
	v_mov_b32_e32 v1, 0xa2b236d3
	v_fmac_f32_e32 v1, 0xa3056dbb, v0
	v_mov_b32_e32 v3, 0x23056dbb
	v_fmac_f32_e32 v3, v0, v1
	v_add_f32_e32 v3, 0x244df0c1, v3
	v_fma_f32 v1, v0, v3, -v1
	v_add_f32_e32 v1, 0x241f9ee8, v1
	v_fma_f32 v3, v0, v1, -v3
	;; [unrolled: 2-line block ×17, first 2 shown]
	v_add_f32_e32 v1, 0x32c2b494, v1
	v_mul_f32_e32 v4, 0x3fb8aa3b, v2
	v_fma_f32 v3, v0, v1, -v3
	v_rndne_f32_e32 v5, v4
	v_add_f32_e32 v3, 0x345c003f, v3
	v_sub_f32_e32 v6, v4, v5
	v_fma_f32 v4, v2, s4, -v4
	v_fma_f32 v1, v0, v3, -v1
	v_fmac_f32_e32 v4, 0x32a5705f, v2
	v_add_f32_e32 v1, 0x3642095e, v1
	v_add_f32_e32 v4, v6, v4
	v_fma_f32 v3, v0, v1, -v3
	v_exp_f32_e32 v4, v4
	v_cvt_i32_f32_e32 v5, v5
	v_add_f32_e32 v3, 0x38907d1c, v3
	v_fma_f32 v1, v0, v3, -v1
	v_add_f32_e32 v1, 0x3b5ccc65, v1
	s_mov_b32 s4, 0xc2ce8ed0
	v_fma_f32 v0, v0, v1, -v3
	v_ldexp_f32 v1, v4, v5
	v_cmp_ngt_f32_e32 vcc, s4, v2
	s_mov_b32 s4, 0x42b17218
	v_cndmask_b32_e32 v1, 0, v1, vcc
	v_mov_b32_e32 v4, 0x7f800000
	v_cmp_nlt_f32_e32 vcc, s4, v2
	s_mov_b32 s4, 0xf800000
	v_cndmask_b32_e32 v1, v4, v1, vcc
	v_mul_f32_e32 v4, 0x4f800000, v2
	v_cmp_gt_f32_e32 vcc, s4, v2
	v_cndmask_b32_e32 v4, v2, v4, vcc
	v_sqrt_f32_e32 v5, v4
	v_add_f32_e32 v0, 0x3f4df315, v0
	v_sub_f32_e32 v0, v0, v3
	v_mul_f32_e32 v0, 0.5, v0
	v_mul_f32_e32 v0, v1, v0
	v_add_u32_e32 v1, -1, v5
	v_fma_f32 v3, -v1, v5, v4
	v_cmp_ge_f32_e64 s[4:5], 0, v3
	v_add_u32_e32 v3, 1, v5
	v_cndmask_b32_e64 v1, v5, v1, s[4:5]
	v_fma_f32 v5, -v3, v5, v4
	v_cmp_lt_f32_e64 s[4:5], 0, v5
	v_cndmask_b32_e64 v1, v1, v3, s[4:5]
	v_mul_f32_e32 v3, 0x37800000, v1
	v_cndmask_b32_e32 v1, v1, v3, vcc
	v_mov_b32_e32 v3, 0x260
	v_cmp_class_f32_e32 vcc, v4, v3
	v_cndmask_b32_e32 v1, v1, v4, vcc
	v_div_scale_f32 v3, s[4:5], v1, v1, v0
	v_rcp_f32_e32 v4, v3
	v_fma_f32 v5, -v3, v4, 1.0
	v_fmac_f32_e32 v4, v5, v4
	v_div_scale_f32 v5, vcc, v0, v1, v0
	v_mul_f32_e32 v6, v5, v4
	v_fma_f32 v7, -v3, v6, v5
	v_fmac_f32_e32 v6, v7, v4
	v_fma_f32 v3, -v3, v6, v5
	v_div_fmas_f32 v3, v3, v4, v6
	v_div_fixup_f32 v4, v3, v1, v0
.LBB22_58:
	s_or_b64 exec, exec, s[14:15]
	v_fma_f32 v0, v2, v2, -2.0
	v_mov_b32_e32 v1, 0x293fd856
	v_fmac_f32_e32 v1, 0x251e770f, v0
	v_mov_b32_e32 v3, 0xa51e770f
	v_fmac_f32_e32 v3, v0, v1
	v_add_f32_e32 v3, 0x2d3612e2, v3
	v_fma_f32 v1, v0, v3, -v1
	v_add_f32_e32 v1, 0x3102e09b, v1
	v_fma_f32 v3, v0, v1, -v3
	v_add_f32_e32 v3, 0x348815e7, v3
	v_fma_f32 v1, v0, v3, -v1
	v_add_f32_e32 v1, 0x37bfc808, v1
	v_fma_f32 v3, v0, v1, -v3
	v_add_f32_e32 v3, 0x3aa5c174, v3
	v_fma_f32 v1, v0, v3, -v1
	v_add_f32_e32 v1, 0x3d135fb3, v1
	v_fma_f32 v3, v0, v1, -v3
	v_add_f32_e32 v3, 0x3eb046c4, v3
	v_fma_f32 v0, v0, v3, -v1
	v_cvt_f64_f32_e32 v[2:3], v2
	v_mul_f64 v[2:3], v[2:3], 0.5
	s_mov_b32 s4, 0x55555555
	v_frexp_mant_f64_e32 v[6:7], v[2:3]
	s_mov_b32 s5, 0x3fe55555
	v_mov_b32_e32 v8, 0x3ff00000
	v_cmp_gt_f64_e32 vcc, s[4:5], v[6:7]
	v_cndmask_b32_e64 v9, v8, 2.0, vcc
	v_mov_b32_e32 v8, 0
	v_mul_f64 v[6:7], v[6:7], v[8:9]
	v_add_f64 v[8:9], v[6:7], 1.0
	v_rcp_f64_e32 v[10:11], v[8:9]
	v_add_f64 v[14:15], v[8:9], -1.0
	v_add_f64 v[12:13], v[6:7], -1.0
	v_add_f64 v[6:7], v[6:7], -v[14:15]
	v_fma_f64 v[14:15], -v[8:9], v[10:11], 1.0
	v_fmac_f64_e32 v[10:11], v[14:15], v[10:11]
	v_fma_f64 v[14:15], -v[8:9], v[10:11], 1.0
	v_fmac_f64_e32 v[10:11], v[14:15], v[10:11]
	v_mul_f64 v[14:15], v[12:13], v[10:11]
	v_mul_f64 v[16:17], v[8:9], v[14:15]
	v_fma_f64 v[8:9], v[14:15], v[8:9], -v[16:17]
	v_fmac_f64_e32 v[8:9], v[14:15], v[6:7]
	v_add_f64 v[6:7], v[16:17], v[8:9]
	v_add_f64 v[18:19], v[12:13], -v[6:7]
	v_add_f64 v[16:17], v[6:7], -v[16:17]
	;; [unrolled: 1-line block ×5, first 2 shown]
	v_add_f64 v[6:7], v[8:9], v[6:7]
	v_add_f64 v[6:7], v[18:19], v[6:7]
	v_mul_f64 v[6:7], v[10:11], v[6:7]
	v_add_f64 v[8:9], v[14:15], v[6:7]
	v_add_f64 v[10:11], v[8:9], -v[14:15]
	s_mov_b32 s4, 0xbf559e2b
	v_add_f64 v[6:7], v[6:7], -v[10:11]
	v_mul_f64 v[10:11], v[8:9], v[8:9]
	v_mov_b32_e32 v12, 0x6b47b09a
	v_mov_b32_e32 v13, 0x3fc38538
	s_mov_b32 s5, 0x3fc3ab76
	v_fmac_f64_e32 v[12:13], s[4:5], v[10:11]
	v_mov_b32_e32 v14, 0xd7f4df2e
	v_mov_b32_e32 v15, 0x3fc7474d
	v_fmac_f64_e32 v[14:15], v[10:11], v[12:13]
	v_mov_b32_e32 v12, 0x16291751
	v_mov_b32_e32 v13, 0x3fcc71c0
	v_fmac_f64_e32 v[12:13], v[10:11], v[14:15]
	v_mov_b32_e32 v14, 0x9b27acf1
	v_mov_b32_e32 v15, 0x3fd24924
	v_fmac_f64_e32 v[14:15], v[10:11], v[12:13]
	v_mov_b32_e32 v12, 0x998ef7b6
	v_mov_b32_e32 v13, 0x3fd99999
	v_fmac_f64_e32 v[12:13], v[10:11], v[14:15]
	v_mov_b32_e32 v14, 0x55555780
	v_mov_b32_e32 v15, 0x3fe55555
	v_fmac_f64_e32 v[14:15], v[10:11], v[12:13]
	v_ldexp_f64 v[12:13], v[8:9], 1
	v_mul_f64 v[8:9], v[8:9], v[10:11]
	v_mul_f64 v[8:9], v[8:9], v[14:15]
	v_add_f64 v[10:11], v[12:13], v[8:9]
	v_add_f64 v[12:13], v[10:11], -v[12:13]
	v_ldexp_f64 v[6:7], v[6:7], 1
	v_add_f64 v[8:9], v[8:9], -v[12:13]
	v_add_f64 v[6:7], v[6:7], v[8:9]
	v_frexp_exp_i32_f64_e32 v5, v[2:3]
	v_add_f64 v[8:9], v[10:11], v[6:7]
	v_subbrev_co_u32_e32 v5, vcc, 0, v5, vcc
	v_add_f64 v[10:11], v[8:9], -v[10:11]
	s_mov_b32 s4, 0xfefa39ef
	v_add_f64 v[6:7], v[6:7], -v[10:11]
	v_cvt_f64_i32_e32 v[10:11], v5
	s_mov_b32 s5, 0x3fe62e42
	v_mul_f64 v[12:13], v[10:11], s[4:5]
	v_fma_f64 v[14:15], v[10:11], s[4:5], -v[12:13]
	s_mov_b32 s4, 0x3b39803f
	s_mov_b32 s5, 0x3c7abc9e
	v_fmac_f64_e32 v[14:15], s[4:5], v[10:11]
	v_add_f64 v[10:11], v[12:13], v[14:15]
	v_add_f64 v[12:13], v[10:11], -v[12:13]
	v_add_f64 v[12:13], v[14:15], -v[12:13]
	v_add_f64 v[14:15], v[10:11], v[8:9]
	v_add_f64 v[16:17], v[14:15], -v[10:11]
	v_add_f64 v[18:19], v[14:15], -v[16:17]
	;; [unrolled: 1-line block ×4, first 2 shown]
	v_add_f64 v[8:9], v[8:9], v[10:11]
	v_add_f64 v[10:11], v[12:13], v[6:7]
	v_add_f64 v[16:17], v[10:11], -v[12:13]
	v_add_f64 v[18:19], v[10:11], -v[16:17]
	v_add_f64 v[8:9], v[10:11], v[8:9]
	v_add_f64 v[12:13], v[12:13], -v[18:19]
	v_add_f64 v[6:7], v[6:7], -v[16:17]
	v_add_f64 v[10:11], v[14:15], v[8:9]
	v_add_f64 v[6:7], v[6:7], v[12:13]
	v_add_f64 v[12:13], v[10:11], -v[14:15]
	v_add_f64 v[8:9], v[8:9], -v[12:13]
	s_mov_b32 s4, 0
	v_add_f32_e32 v0, 0xbf090b37, v0
	v_add_f64 v[6:7], v[6:7], v[8:9]
	s_mov_b32 s5, 0x7ff00000
	v_sub_f32_e32 v0, v0, v1
	v_add_f64 v[6:7], v[10:11], v[6:7]
	v_cmp_eq_f64_e32 vcc, s[4:5], v[2:3]
	v_mul_f32_e32 v0, 0.5, v0
	v_cndmask_b32_e32 v5, v6, v2, vcc
	v_cndmask_b32_e32 v6, v7, v3, vcc
	v_mov_b32_e32 v7, 0xfff00000
	v_cmp_neq_f64_e32 vcc, 0, v[2:3]
	v_cvt_f64_f32_e32 v[0:1], v0
	v_cndmask_b32_e32 v3, v7, v6, vcc
	v_cndmask_b32_e32 v2, 0, v5, vcc
	v_cvt_f64_f32_e32 v[4:5], v4
	v_fma_f64 v[0:1], -v[2:3], v[4:5], v[0:1]
	v_cvt_f32_f64_e32 v0, v[0:1]
                                        ; implicit-def: $vgpr2
.LBB22_59:
	s_andn2_saveexec_b64 s[12:13], s[12:13]
	s_cbranch_execz .LBB22_61
; %bb.60:
	s_mov_b32 s14, 0x41000000
	v_div_scale_f32 v0, s[4:5], v2, v2, s14
	v_rcp_f32_e32 v1, v0
	v_div_scale_f32 v3, vcc, s14, v2, s14
	s_mov_b32 s4, 0xbfb8aa3b
	v_fma_f32 v4, -v0, v1, 1.0
	v_fmac_f32_e32 v1, v4, v1
	v_mul_f32_e32 v4, v3, v1
	v_fma_f32 v5, -v0, v4, v3
	v_fmac_f32_e32 v4, v5, v1
	v_fma_f32 v0, -v0, v4, v3
	v_div_fmas_f32 v0, v0, v1, v4
	v_div_fixup_f32 v0, v0, v2, s14
	v_add_f32_e32 v0, -2.0, v0
	v_mov_b32_e32 v1, 0xa397f665
	v_fmac_f32_e32 v1, 0x22c38d2e, v0
	v_mov_b32_e32 v3, 0xa2c38d2e
	v_fmac_f32_e32 v3, v0, v1
	v_add_f32_e32 v3, 0x24704972, v3
	v_fma_f32 v1, v0, v3, -v1
	v_add_f32_e32 v1, 0xa5417ca4, v1
	v_fma_f32 v3, v0, v1, -v3
	;; [unrolled: 2-line block ×17, first 2 shown]
	v_add_f32_e32 v1, 0xb5f5daa4, v1
	v_mul_f32_e32 v4, 0xbfb8aa3b, v2
	v_fma_f32 v3, v0, v1, -v3
	v_rndne_f32_e32 v5, v4
	v_add_f32_e32 v3, 0x376a09fe, v3
	v_sub_f32_e32 v6, v4, v5
	v_fma_f32 v4, v2, s4, -v4
	v_fma_f32 v1, v0, v3, -v1
	v_fmac_f32_e32 v4, 0xb2a5705f, v2
	v_add_f32_e32 v1, 0xb906bcbf, v1
	v_add_f32_e32 v4, v6, v4
	v_fma_f32 v3, v0, v1, -v3
	v_exp_f32_e32 v4, v4
	v_cvt_i32_f32_e32 v5, v5
	v_add_f32_e32 v3, 0x3acdc490, v3
	v_fma_f32 v1, v0, v3, -v1
	v_add_f32_e32 v1, 0xbd00cfb9, v1
	s_mov_b32 s4, 0x42ce8ed0
	v_fma_f32 v0, v0, v1, -v3
	v_ldexp_f32 v1, v4, v5
	v_cmp_nlt_f32_e32 vcc, s4, v2
	s_mov_b32 s4, 0xc2b17218
	v_cndmask_b32_e32 v1, 0, v1, vcc
	v_mov_b32_e32 v4, 0x7f800000
	v_cmp_ngt_f32_e32 vcc, s4, v2
	s_mov_b32 s4, 0xf800000
	v_cndmask_b32_e32 v1, v4, v1, vcc
	v_mul_f32_e32 v4, 0x4f800000, v2
	v_cmp_gt_f32_e32 vcc, s4, v2
	v_cndmask_b32_e32 v2, v2, v4, vcc
	v_sqrt_f32_e32 v4, v2
	v_add_f32_e32 v0, 0x401c2ded, v0
	v_sub_f32_e32 v0, v0, v3
	v_mul_f32_e32 v0, 0.5, v0
	v_mul_f32_e32 v0, v1, v0
	v_add_u32_e32 v1, -1, v4
	v_fma_f32 v3, -v1, v4, v2
	v_cmp_ge_f32_e64 s[4:5], 0, v3
	v_add_u32_e32 v3, 1, v4
	v_cndmask_b32_e64 v1, v4, v1, s[4:5]
	v_fma_f32 v4, -v3, v4, v2
	v_cmp_lt_f32_e64 s[4:5], 0, v4
	v_cndmask_b32_e64 v1, v1, v3, s[4:5]
	v_mul_f32_e32 v3, 0x37800000, v1
	v_cndmask_b32_e32 v1, v1, v3, vcc
	v_mov_b32_e32 v3, 0x260
	v_cmp_class_f32_e32 vcc, v2, v3
	v_cndmask_b32_e32 v1, v1, v2, vcc
	v_div_scale_f32 v2, s[4:5], v1, v1, v0
	v_rcp_f32_e32 v3, v2
	v_fma_f32 v4, -v2, v3, 1.0
	v_fmac_f32_e32 v3, v4, v3
	v_div_scale_f32 v4, vcc, v0, v1, v0
	v_mul_f32_e32 v5, v4, v3
	v_fma_f32 v6, -v2, v5, v4
	v_fmac_f32_e32 v5, v6, v3
	v_fma_f32 v2, -v2, v5, v4
	v_div_fmas_f32 v2, v2, v3, v5
	v_div_fixup_f32 v0, v2, v1, v0
.LBB22_61:
	s_or_b64 exec, exec, s[12:13]
.LBB22_62:
	s_or_b64 exec, exec, s[10:11]
.LBB22_63:
	s_or_b64 exec, exec, s[8:9]
	s_or_b64 exec, exec, s[6:7]
	s_setpc_b64 s[30:31]
.LBB22_64:
	v_mov_b32_e32 v2, 28
	v_cmp_gt_i16_sdwa s[8:9], v3, v2 src0_sel:BYTE_0 src1_sel:DWORD
	s_mov_b64 s[14:15], 0
                                        ; implicit-def: $vgpr2
	s_and_saveexec_b64 s[16:17], s[8:9]
	s_xor_b64 s[8:9], exec, s[16:17]
	s_cbranch_execz .LBB22_80
; %bb.65:
	v_mov_b32_e32 v2, 43
	v_cmp_gt_i16_sdwa s[12:13], v3, v2 src0_sel:BYTE_0 src1_sel:DWORD
	s_mov_b64 s[16:17], 0
	s_mov_b64 s[18:19], 0
                                        ; implicit-def: $vgpr2
	s_and_saveexec_b64 s[14:15], s[12:13]
	s_xor_b64 s[12:13], exec, s[14:15]
	s_cbranch_execz .LBB22_75
; %bb.66:
	v_mov_b32_e32 v2, 45
	v_cmp_gt_i16_sdwa s[18:19], v3, v2 src0_sel:BYTE_0 src1_sel:DWORD
	s_mov_b64 s[14:15], 0
                                        ; implicit-def: $vgpr2
	s_and_saveexec_b64 s[20:21], s[18:19]
	s_xor_b64 s[18:19], exec, s[20:21]
	s_cbranch_execz .LBB22_70
; %bb.67:
	v_mov_b32_e32 v2, 46
	v_cmp_eq_u16_sdwa s[22:23], v3, v2 src0_sel:BYTE_0 src1_sel:DWORD
	s_mov_b64 s[20:21], -1
                                        ; implicit-def: $vgpr2
	s_and_saveexec_b64 s[16:17], s[22:23]
	s_cbranch_execz .LBB22_69
; %bb.68:
	flat_load_dword v2, v[0:1]
	s_mov_b64 s[14:15], exec
	s_xor_b64 s[20:21], exec, -1
	s_waitcnt vmcnt(0) lgkmcnt(0)
	v_lshlrev_b32_e32 v2, 16, v2
.LBB22_69:
	s_or_b64 exec, exec, s[16:17]
	s_and_b64 s[16:17], s[14:15], exec
	s_and_b64 s[14:15], s[20:21], exec
                                        ; implicit-def: $vgpr3
.LBB22_70:
	s_andn2_saveexec_b64 s[18:19], s[18:19]
	s_cbranch_execz .LBB22_74
; %bb.71:
	v_mov_b32_e32 v2, 44
	v_cmp_eq_u16_sdwa s[26:27], v3, v2 src0_sel:BYTE_0 src1_sel:DWORD
	s_mov_b64 s[24:25], -1
	s_mov_b64 s[22:23], s[16:17]
                                        ; implicit-def: $vgpr2
	s_and_saveexec_b64 s[20:21], s[26:27]
	s_cbranch_execz .LBB22_73
; %bb.72:
	flat_load_ubyte v2, v[0:1]
	s_movk_i32 s24, 0xff
	v_mov_b32_e32 v3, 0x7f800001
	v_mov_b32_e32 v4, 0x400000
	s_or_b64 s[22:23], s[16:17], exec
	s_waitcnt vmcnt(0) lgkmcnt(0)
	v_lshlrev_b32_e32 v5, 23, v2
	v_cmp_ne_u32_e32 vcc, s24, v2
	v_cndmask_b32_e32 v3, v3, v5, vcc
	v_cmp_ne_u32_e32 vcc, 0, v2
	v_cndmask_b32_e32 v2, v4, v3, vcc
	s_xor_b64 s[24:25], exec, -1
.LBB22_73:
	s_or_b64 exec, exec, s[20:21]
	s_andn2_b64 s[16:17], s[16:17], exec
	s_and_b64 s[20:21], s[22:23], exec
	s_or_b64 s[16:17], s[16:17], s[20:21]
	s_andn2_b64 s[14:15], s[14:15], exec
	s_and_b64 s[20:21], s[24:25], exec
	s_or_b64 s[14:15], s[14:15], s[20:21]
.LBB22_74:
	s_or_b64 exec, exec, s[18:19]
	s_and_b64 s[18:19], s[16:17], exec
	s_and_b64 s[16:17], s[14:15], exec
                                        ; implicit-def: $vgpr3
.LBB22_75:
	s_andn2_saveexec_b64 s[12:13], s[12:13]
	s_cbranch_execz .LBB22_79
; %bb.76:
	v_mov_b32_e32 v2, 29
	v_cmp_eq_u16_sdwa s[24:25], v3, v2 src0_sel:BYTE_0 src1_sel:DWORD
	s_mov_b64 s[20:21], -1
	s_mov_b64 s[22:23], s[18:19]
                                        ; implicit-def: $vgpr2
	s_and_saveexec_b64 s[14:15], s[24:25]
	s_cbranch_execz .LBB22_78
; %bb.77:
	flat_load_dwordx2 v[2:3], v[0:1]
	s_or_b64 s[22:23], s[18:19], exec
	s_xor_b64 s[20:21], exec, -1
	s_waitcnt vmcnt(0) lgkmcnt(0)
	v_ffbh_u32_e32 v4, v3
	v_min_u32_e32 v4, 32, v4
	v_lshlrev_b64 v[2:3], v4, v[2:3]
	v_min_u32_e32 v2, 1, v2
	v_or_b32_e32 v2, v3, v2
	v_cvt_f32_u32_e32 v2, v2
	v_sub_u32_e32 v3, 32, v4
	v_ldexp_f32 v2, v2, v3
.LBB22_78:
	s_or_b64 exec, exec, s[14:15]
	s_andn2_b64 s[14:15], s[18:19], exec
	s_and_b64 s[18:19], s[22:23], exec
	s_or_b64 s[18:19], s[14:15], s[18:19]
	s_andn2_b64 s[14:15], s[16:17], exec
	s_and_b64 s[16:17], s[20:21], exec
	s_or_b64 s[16:17], s[14:15], s[16:17]
.LBB22_79:
	s_or_b64 exec, exec, s[12:13]
	s_and_b64 s[14:15], s[18:19], exec
	s_and_b64 s[12:13], s[16:17], exec
                                        ; implicit-def: $vgpr3
.LBB22_80:
	s_andn2_saveexec_b64 s[8:9], s[8:9]
	s_cbranch_execz .LBB22_94
; %bb.81:
	v_mov_b32_e32 v2, 26
	v_cmp_gt_i16_sdwa s[16:17], v3, v2 src0_sel:BYTE_0 src1_sel:DWORD
                                        ; implicit-def: $vgpr2
	s_and_saveexec_b64 s[18:19], s[16:17]
	s_xor_b64 s[16:17], exec, s[18:19]
	s_cbranch_execz .LBB22_87
; %bb.82:
	v_mov_b32_e32 v2, 27
	v_cmp_gt_i16_sdwa s[18:19], v3, v2 src0_sel:BYTE_0 src1_sel:DWORD
                                        ; implicit-def: $vgpr2
	s_and_saveexec_b64 s[20:21], s[18:19]
	s_xor_b64 s[18:19], exec, s[20:21]
	s_cbranch_execz .LBB22_84
; %bb.83:
	flat_load_dword v2, v[0:1]
	s_waitcnt vmcnt(0) lgkmcnt(0)
	v_cvt_f32_u32_e32 v2, v2
.LBB22_84:
	s_andn2_saveexec_b64 s[18:19], s[18:19]
	s_cbranch_execz .LBB22_86
; %bb.85:
	flat_load_ushort v2, v[0:1]
	s_waitcnt vmcnt(0) lgkmcnt(0)
	v_cvt_f32_u32_e32 v2, v2
.LBB22_86:
	s_or_b64 exec, exec, s[18:19]
.LBB22_87:
	s_andn2_saveexec_b64 s[16:17], s[16:17]
	s_cbranch_execz .LBB22_93
; %bb.88:
	flat_load_ubyte v3, v[0:1]
	s_movk_i32 s18, 0x7f
                                        ; implicit-def: $sgpr24
	s_waitcnt vmcnt(0) lgkmcnt(0)
	v_cmp_lt_i16_e32 vcc, s18, v3
	s_mov_b64 s[18:19], 0
	s_and_saveexec_b64 s[20:21], vcc
	s_xor_b64 s[20:21], exec, s[20:21]
	s_cbranch_execnz .LBB22_119
; %bb.89:
	s_or_saveexec_b64 s[20:21], s[20:21]
	v_mov_b32_e32 v2, s24
	s_xor_b64 exec, exec, s[20:21]
	s_cbranch_execnz .LBB22_122
.LBB22_90:
	s_or_b64 exec, exec, s[20:21]
	s_and_saveexec_b64 s[20:21], s[18:19]
	s_cbranch_execz .LBB22_92
.LBB22_91:
	v_lshlrev_b32_e32 v2, 24, v3
	v_and_b32_e32 v3, 0xffff, v3
	v_and_b32_e32 v4, 7, v3
	v_ffbh_u32_e32 v6, v4
	v_min_u32_e32 v6, 32, v6
	v_subrev_u32_e32 v7, 28, v6
	v_bfe_u32 v5, v3, 3, 4
	v_lshlrev_b32_e32 v3, v7, v3
	v_sub_u32_e32 v6, 29, v6
	v_and_b32_e32 v3, 7, v3
	v_cmp_eq_u32_e32 vcc, 0, v5
	v_cndmask_b32_e32 v5, v5, v6, vcc
	v_cndmask_b32_e32 v3, v4, v3, vcc
	v_mov_b32_e32 v4, 0x3b800000
	v_lshlrev_b32_e32 v3, 20, v3
	v_and_b32_e32 v2, 0x80000000, v2
	v_lshl_add_u32 v4, v5, 23, v4
	v_or3_b32 v2, v2, v4, v3
.LBB22_92:
	s_or_b64 exec, exec, s[20:21]
.LBB22_93:
	s_or_b64 exec, exec, s[16:17]
	s_or_b64 s[14:15], s[14:15], exec
.LBB22_94:
	s_or_b64 exec, exec, s[8:9]
	s_and_b64 s[8:9], s[14:15], exec
	s_and_b64 s[12:13], s[12:13], exec
                                        ; implicit-def: $vgpr3
	s_andn2_saveexec_b64 s[10:11], s[10:11]
	s_cbranch_execz .LBB22_6
.LBB22_95:
	v_mov_b32_e32 v2, 22
	v_cmp_gt_i16_sdwa s[6:7], v3, v2 src0_sel:BYTE_0 src1_sel:DWORD
	s_mov_b64 s[14:15], s[8:9]
                                        ; implicit-def: $vgpr2
	s_and_saveexec_b64 s[16:17], s[6:7]
	s_xor_b64 s[6:7], exec, s[16:17]
	s_cbranch_execz .LBB22_109
; %bb.96:
	v_mov_b32_e32 v2, 23
	v_cmp_gt_i16_sdwa s[14:15], v3, v2 src0_sel:BYTE_0 src1_sel:DWORD
                                        ; implicit-def: $vgpr2
	s_and_saveexec_b64 s[16:17], s[14:15]
	s_xor_b64 s[14:15], exec, s[16:17]
	s_cbranch_execz .LBB22_106
; %bb.97:
	v_mov_b32_e32 v2, 24
	v_cmp_gt_i16_sdwa s[16:17], v3, v2 src0_sel:BYTE_0 src1_sel:DWORD
                                        ; implicit-def: $vgpr2
	s_and_saveexec_b64 s[18:19], s[16:17]
	s_xor_b64 s[16:17], exec, s[18:19]
	s_cbranch_execz .LBB22_103
; %bb.98:
	flat_load_ubyte v3, v[0:1]
	s_movk_i32 s18, 0x7f
                                        ; implicit-def: $sgpr24
	s_waitcnt vmcnt(0) lgkmcnt(0)
	v_cmp_lt_i16_e32 vcc, s18, v3
	s_mov_b64 s[18:19], 0
	s_and_saveexec_b64 s[20:21], vcc
	s_xor_b64 s[20:21], exec, s[20:21]
	s_cbranch_execnz .LBB22_123
; %bb.99:
	s_or_saveexec_b64 s[20:21], s[20:21]
	v_mov_b32_e32 v2, s24
	s_xor_b64 exec, exec, s[20:21]
	s_cbranch_execnz .LBB22_126
.LBB22_100:
	s_or_b64 exec, exec, s[20:21]
	s_and_saveexec_b64 s[20:21], s[18:19]
	s_cbranch_execz .LBB22_102
.LBB22_101:
	v_lshlrev_b32_e32 v2, 24, v3
	v_and_b32_e32 v3, 0xffff, v3
	v_and_b32_e32 v4, 3, v3
	v_ffbh_u32_e32 v6, v4
	v_min_u32_e32 v6, 32, v6
	v_subrev_u32_e32 v7, 29, v6
	v_bfe_u32 v5, v3, 2, 5
	v_lshlrev_b32_e32 v3, v7, v3
	v_sub_u32_e32 v6, 30, v6
	v_and_b32_e32 v3, 3, v3
	v_cmp_eq_u32_e32 vcc, 0, v5
	v_cndmask_b32_e32 v5, v5, v6, vcc
	v_cndmask_b32_e32 v3, v4, v3, vcc
	v_mov_b32_e32 v4, 0x37800000
	v_lshlrev_b32_e32 v3, 21, v3
	v_and_b32_e32 v2, 0x80000000, v2
	v_lshl_add_u32 v4, v5, 23, v4
	v_or3_b32 v2, v2, v4, v3
.LBB22_102:
	s_or_b64 exec, exec, s[20:21]
.LBB22_103:
	s_andn2_saveexec_b64 s[16:17], s[16:17]
	s_cbranch_execz .LBB22_105
; %bb.104:
	flat_load_ubyte v2, v[0:1]
	s_mov_b32 s18, 0x7f800000
	s_waitcnt vmcnt(0) lgkmcnt(0)
	v_lshlrev_b32_e32 v2, 24, v2
	v_and_b32_e32 v3, 0x7f000000, v2
	v_ffbh_u32_e32 v4, v3
	v_min_u32_e32 v4, 32, v4
	v_sub_u32_e64 v4, v4, 4 clamp
	v_lshlrev_b32_e32 v6, v4, v3
	v_lshlrev_b32_e32 v4, 23, v4
	v_lshrrev_b32_e32 v6, 4, v6
	v_add_u32_e32 v5, 0x1000000, v3
	v_sub_u32_e32 v4, v6, v4
	v_ashrrev_i32_e32 v5, 8, v5
	v_add_u32_e32 v4, 0x3c000000, v4
	v_and_or_b32 v4, v5, s18, v4
	v_cmp_ne_u32_e32 vcc, 0, v3
	v_cndmask_b32_e32 v3, 0, v4, vcc
	s_brev_b32 s18, 1
	v_and_or_b32 v2, v2, s18, v3
.LBB22_105:
	s_or_b64 exec, exec, s[16:17]
.LBB22_106:
	s_andn2_saveexec_b64 s[14:15], s[14:15]
	s_cbranch_execz .LBB22_108
; %bb.107:
	flat_load_ubyte v2, v[0:1]
	s_movk_i32 s16, 0x7f00
	s_brev_b32 s17, 16
	s_waitcnt vmcnt(0) lgkmcnt(0)
	v_lshlrev_b16_e32 v3, 8, v2
	v_lshlrev_b32_e32 v2, 25, v2
	v_lshrrev_b32_e32 v4, 4, v2
	v_and_or_b32 v5, v3, s16, 0.5
	v_or_b32_e32 v4, 0x70000000, v4
	v_add_f32_e32 v5, -0.5, v5
	v_mul_f32_e32 v4, 0x7800000, v4
	v_cmp_gt_u32_e32 vcc, s17, v2
	v_bfe_i32 v3, v3, 0, 16
	v_cndmask_b32_e32 v2, v4, v5, vcc
	s_brev_b32 s16, 1
	v_and_or_b32 v2, v3, s16, v2
.LBB22_108:
	s_or_b64 exec, exec, s[14:15]
	s_or_b64 s[14:15], s[8:9], exec
                                        ; implicit-def: $vgpr3
.LBB22_109:
	s_or_saveexec_b64 s[6:7], s[6:7]
	s_mov_b64 s[18:19], 0
	s_mov_b64 s[16:17], s[12:13]
	s_xor_b64 exec, exec, s[6:7]
	s_cbranch_execz .LBB22_117
; %bb.110:
	v_mov_b32_e32 v2, 14
	v_cmp_gt_i16_sdwa s[20:21], v3, v2 src0_sel:BYTE_0 src1_sel:DWORD
	s_mov_b64 s[16:17], s[12:13]
	s_mov_b64 s[18:19], s[14:15]
                                        ; implicit-def: $vgpr2
	s_and_saveexec_b64 s[22:23], s[20:21]
	s_xor_b64 s[20:21], exec, s[22:23]
	s_cbranch_execz .LBB22_114
; %bb.111:
	v_mov_b32_e32 v2, 15
	v_cmp_eq_u16_sdwa s[24:25], v3, v2 src0_sel:BYTE_0 src1_sel:DWORD
	s_mov_b64 s[16:17], -1
	s_mov_b64 s[18:19], s[14:15]
                                        ; implicit-def: $vgpr2
	s_and_saveexec_b64 s[22:23], s[24:25]
	s_cbranch_execz .LBB22_113
; %bb.112:
	flat_load_ushort v2, v[0:1]
	s_or_b64 s[18:19], s[14:15], exec
	s_xor_b64 s[16:17], exec, -1
	s_waitcnt vmcnt(0) lgkmcnt(0)
	v_lshlrev_b32_e32 v2, 16, v2
.LBB22_113:
	s_or_b64 exec, exec, s[22:23]
	s_andn2_b64 s[22:23], s[14:15], exec
	s_and_b64 s[18:19], s[18:19], exec
	s_or_b64 s[18:19], s[22:23], s[18:19]
	s_andn2_b64 s[22:23], s[12:13], exec
	s_and_b64 s[16:17], s[16:17], exec
	s_or_b64 s[16:17], s[22:23], s[16:17]
                                        ; implicit-def: $vgpr3
.LBB22_114:
	s_or_saveexec_b64 s[20:21], s[20:21]
	s_mov_b64 s[22:23], 0
	s_xor_b64 exec, exec, s[20:21]
; %bb.115:
	v_mov_b32_e32 v2, 11
	v_cmp_ne_u16_sdwa s[24:25], v3, v2 src0_sel:BYTE_0 src1_sel:DWORD
	s_andn2_b64 s[16:17], s[16:17], exec
	s_and_b64 s[24:25], s[24:25], exec
	s_mov_b64 s[22:23], exec
	s_or_b64 s[16:17], s[16:17], s[24:25]
                                        ; implicit-def: $vgpr2
; %bb.116:
	s_or_b64 exec, exec, s[20:21]
	s_andn2_b64 s[14:15], s[14:15], exec
	s_and_b64 s[18:19], s[18:19], exec
	s_andn2_b64 s[20:21], s[12:13], exec
	s_and_b64 s[16:17], s[16:17], exec
	s_or_b64 s[14:15], s[14:15], s[18:19]
	s_and_b64 s[18:19], s[22:23], exec
	s_or_b64 s[16:17], s[20:21], s[16:17]
.LBB22_117:
	s_or_b64 exec, exec, s[6:7]
	s_andn2_b64 s[6:7], s[8:9], exec
	s_and_b64 s[8:9], s[14:15], exec
	s_andn2_b64 s[12:13], s[12:13], exec
	s_and_b64 s[14:15], s[16:17], exec
	s_or_b64 s[8:9], s[6:7], s[8:9]
	s_and_b64 s[6:7], s[18:19], exec
	s_or_b64 s[12:13], s[12:13], s[14:15]
	s_or_b64 exec, exec, s[10:11]
	s_and_saveexec_b64 s[10:11], s[12:13]
	s_cbranch_execz .LBB22_7
.LBB22_118:
	s_trap 2
	; divergent unreachable
	s_andn2_b64 s[6:7], s[6:7], exec
                                        ; implicit-def: $vgpr2
	s_or_b64 exec, exec, s[10:11]
	s_and_saveexec_b64 s[10:11], s[6:7]
	s_xor_b64 s[6:7], exec, s[10:11]
	s_cbranch_execnz .LBB22_8
	s_branch .LBB22_9
.LBB22_119:
	s_movk_i32 s18, 0x80
	v_cmp_eq_u16_e32 vcc, s18, v3
	s_mov_b64 s[18:19], -1
                                        ; implicit-def: $sgpr24
	s_and_saveexec_b64 s[22:23], vcc
; %bb.120:
	s_mov_b32 s24, 0x7f800001
	s_xor_b64 s[18:19], exec, -1
; %bb.121:
	s_or_b64 exec, exec, s[22:23]
	s_and_b64 s[18:19], s[18:19], exec
	s_or_saveexec_b64 s[20:21], s[20:21]
	v_mov_b32_e32 v2, s24
	s_xor_b64 exec, exec, s[20:21]
	s_cbranch_execz .LBB22_90
.LBB22_122:
	v_cmp_ne_u16_e32 vcc, 0, v3
	s_andn2_b64 s[18:19], s[18:19], exec
	s_and_b64 s[22:23], vcc, exec
	v_mov_b32_e32 v2, 0
	s_or_b64 s[18:19], s[18:19], s[22:23]
	s_or_b64 exec, exec, s[20:21]
	s_and_saveexec_b64 s[20:21], s[18:19]
	s_cbranch_execnz .LBB22_91
	s_branch .LBB22_92
.LBB22_123:
	s_movk_i32 s18, 0x80
	v_cmp_eq_u16_e32 vcc, s18, v3
	s_mov_b64 s[18:19], -1
                                        ; implicit-def: $sgpr24
	s_and_saveexec_b64 s[22:23], vcc
; %bb.124:
	s_mov_b32 s24, 0x7f800001
	s_xor_b64 s[18:19], exec, -1
; %bb.125:
	s_or_b64 exec, exec, s[22:23]
	s_and_b64 s[18:19], s[18:19], exec
	s_or_saveexec_b64 s[20:21], s[20:21]
	v_mov_b32_e32 v2, s24
	s_xor_b64 exec, exec, s[20:21]
	s_cbranch_execz .LBB22_100
.LBB22_126:
	v_cmp_ne_u16_e32 vcc, 0, v3
	s_andn2_b64 s[18:19], s[18:19], exec
	s_and_b64 s[22:23], vcc, exec
	v_mov_b32_e32 v2, 0
	s_or_b64 s[18:19], s[18:19], s[22:23]
	s_or_b64 exec, exec, s[20:21]
	s_and_saveexec_b64 s[20:21], s[18:19]
	s_cbranch_execnz .LBB22_101
	s_branch .LBB22_102
.Lfunc_end22:
	.size	_ZN2at6native6invokeIZZZNS0_12_GLOBAL__N_130modified_bessel_k0_kernel_cudaERNS_18TensorIteratorBaseEENKUlvE_clEvENKUlvE0_clEvEUlfE_j15function_traitsIS7_EEENT1_11result_typeERKT_PrKPcPKT0_PKN3c1010ScalarTypeEi, .Lfunc_end22-_ZN2at6native6invokeIZZZNS0_12_GLOBAL__N_130modified_bessel_k0_kernel_cudaERNS_18TensorIteratorBaseEENKUlvE_clEvENKUlvE0_clEvEUlfE_j15function_traitsIS7_EEENT1_11result_typeERKT_PrKPcPKT0_PKN3c1010ScalarTypeEi
                                        ; -- End function
	.section	.AMDGPU.csdata,"",@progbits
; Function info:
; codeLenInByte = 5608
; NumSgprs: 36
; NumVgprs: 20
; NumAgprs: 0
; TotalNumVgprs: 20
; ScratchSize: 0
; MemoryBound: 1
	.section	.text._ZN2at6native32elementwise_kernel_manual_unrollILi128ELi4EZNS0_15gpu_kernel_implIZZZNS0_12_GLOBAL__N_130modified_bessel_k0_kernel_cudaERNS_18TensorIteratorBaseEENKUlvE_clEvENKUlvE0_clEvEUlfE_EEvS5_RKT_EUlibE0_EEviT1_,"axG",@progbits,_ZN2at6native32elementwise_kernel_manual_unrollILi128ELi4EZNS0_15gpu_kernel_implIZZZNS0_12_GLOBAL__N_130modified_bessel_k0_kernel_cudaERNS_18TensorIteratorBaseEENKUlvE_clEvENKUlvE0_clEvEUlfE_EEvS5_RKT_EUlibE0_EEviT1_,comdat
	.globl	_ZN2at6native32elementwise_kernel_manual_unrollILi128ELi4EZNS0_15gpu_kernel_implIZZZNS0_12_GLOBAL__N_130modified_bessel_k0_kernel_cudaERNS_18TensorIteratorBaseEENKUlvE_clEvENKUlvE0_clEvEUlfE_EEvS5_RKT_EUlibE0_EEviT1_ ; -- Begin function _ZN2at6native32elementwise_kernel_manual_unrollILi128ELi4EZNS0_15gpu_kernel_implIZZZNS0_12_GLOBAL__N_130modified_bessel_k0_kernel_cudaERNS_18TensorIteratorBaseEENKUlvE_clEvENKUlvE0_clEvEUlfE_EEvS5_RKT_EUlibE0_EEviT1_
	.p2align	8
	.type	_ZN2at6native32elementwise_kernel_manual_unrollILi128ELi4EZNS0_15gpu_kernel_implIZZZNS0_12_GLOBAL__N_130modified_bessel_k0_kernel_cudaERNS_18TensorIteratorBaseEENKUlvE_clEvENKUlvE0_clEvEUlfE_EEvS5_RKT_EUlibE0_EEviT1_,@function
_ZN2at6native32elementwise_kernel_manual_unrollILi128ELi4EZNS0_15gpu_kernel_implIZZZNS0_12_GLOBAL__N_130modified_bessel_k0_kernel_cudaERNS_18TensorIteratorBaseEENKUlvE_clEvENKUlvE0_clEvEUlfE_EEvS5_RKT_EUlibE0_EEviT1_: ; @_ZN2at6native32elementwise_kernel_manual_unrollILi128ELi4EZNS0_15gpu_kernel_implIZZZNS0_12_GLOBAL__N_130modified_bessel_k0_kernel_cudaERNS_18TensorIteratorBaseEENKUlvE_clEvENKUlvE0_clEvEUlfE_EEvS5_RKT_EUlibE0_EEviT1_
; %bb.0:
	s_load_dword s74, s[4:5], 0x0
	s_load_dword s33, s[4:5], 0x8
	s_add_u32 flat_scratch_lo, s6, s9
	s_addc_u32 flat_scratch_hi, s7, 0
	s_add_u32 s0, s0, s9
	s_mov_b64 s[28:29], s[4:5]
	s_addc_u32 s1, s1, 0
	s_or_b32 s34, s28, 8
	v_lshl_or_b32 v24, s8, 9, v0
	s_waitcnt lgkmcnt(0)
	s_add_i32 s76, s33, -1
	v_or_b32_e32 v1, 0x180, v24
	s_cmp_gt_u32 s76, 1
	s_mov_b32 s35, s5
	v_cmp_le_i32_e32 vcc, s74, v1
	s_cselect_b64 s[50:51], -1, 0
	s_mov_b64 s[48:49], 0
	s_mov_b64 s[40:41], 0
	s_mov_b32 s32, 0
	s_and_saveexec_b64 s[4:5], vcc
	s_xor_b64 s[52:53], exec, s[4:5]
	s_cbranch_execz .LBB23_570
; %bb.1:
	v_mov_b32_e32 v0, 0
	global_load_ushort v21, v0, s[34:35] offset:345
	s_load_dwordx4 s[44:47], s[34:35], 0x4
	s_load_dwordx2 s[54:55], s[34:35], 0x14
	s_load_dwordx4 s[40:43], s[34:35], 0xc4
	s_load_dwordx4 s[36:39], s[34:35], 0x148
	s_cmp_lg_u32 s33, 0
	s_cselect_b64 s[60:61], -1, 0
	s_add_u32 s58, s34, 0xc4
	s_addc_u32 s59, s35, 0
	s_min_u32 s77, s76, 15
	s_cmp_gt_u32 s33, 1
	v_cmp_gt_i32_e32 vcc, s74, v24
	s_mov_b64 s[4:5], -1
	s_mov_b64 s[68:69], 0
	s_cselect_b64 s[56:57], -1, 0
	s_mov_b64 s[62:63], 0
	s_waitcnt vmcnt(0)
	v_lshrrev_b16_e32 v20, 8, v21
	s_and_saveexec_b64 s[64:65], vcc
	s_cbranch_execz .LBB23_139
; %bb.2:
	s_andn2_b64 vcc, exec, s[50:51]
	s_cbranch_vccnz .LBB23_8
; %bb.3:
	s_mov_b32 s24, 0
	s_andn2_b64 vcc, exec, s[60:61]
	v_mov_b32_e32 v2, 0
	v_mov_b32_e32 v22, 0
	s_cbranch_vccnz .LBB23_14
; %bb.4:
	s_add_i32 s62, s77, 1
	s_cmp_eq_u32 s76, 2
	s_cbranch_scc1 .LBB23_9
; %bb.5:
	s_and_b32 s24, s62, 28
	s_mov_b32 s25, 0
	v_mov_b32_e32 v22, 0
	s_mov_b64 s[26:27], s[34:35]
	s_mov_b64 s[30:31], s[58:59]
	v_mov_b32_e32 v0, v24
	v_mov_b32_e32 v2, 0
.LBB23_6:                               ; =>This Inner Loop Header: Depth=1
	s_load_dwordx8 s[12:19], s[26:27], 0x4
	s_load_dwordx4 s[20:23], s[26:27], 0x24
	s_load_dwordx8 s[4:11], s[30:31], 0x0
	s_add_u32 s26, s26, 48
	s_addc_u32 s27, s27, 0
	s_waitcnt lgkmcnt(0)
	v_mul_hi_u32 v1, s13, v0
	v_add_u32_e32 v1, v0, v1
	v_lshrrev_b32_e32 v1, s14, v1
	v_mul_lo_u32 v3, v1, s12
	v_mul_hi_u32 v4, s16, v1
	v_sub_u32_e32 v0, v0, v3
	v_add_u32_e32 v3, v1, v4
	v_lshrrev_b32_e32 v3, s17, v3
	v_mul_lo_u32 v5, v3, s15
	v_mul_hi_u32 v6, s19, v3
	v_sub_u32_e32 v1, v1, v5
	v_add_u32_e32 v5, v3, v6
	v_mul_lo_u32 v4, v0, s5
	v_mul_lo_u32 v0, v0, s4
	;; [unrolled: 1-line block ×4, first 2 shown]
	v_lshrrev_b32_e32 v5, s20, v5
	v_add3_u32 v1, v0, v22, v1
	v_add3_u32 v2, v4, v2, v6
	v_mul_lo_u32 v0, v5, s18
	v_mul_hi_u32 v4, s22, v5
	v_sub_u32_e32 v0, v3, v0
	v_add_u32_e32 v3, v5, v4
	v_mul_lo_u32 v4, v0, s8
	v_mul_lo_u32 v6, v0, s9
	v_lshrrev_b32_e32 v0, s23, v3
	s_add_i32 s25, s25, 4
	v_mul_lo_u32 v3, v0, s21
	s_add_u32 s30, s30, 32
	v_sub_u32_e32 v3, v5, v3
	s_addc_u32 s31, s31, 0
	v_mul_lo_u32 v5, v3, s10
	v_mul_lo_u32 v3, v3, s11
	s_cmp_lg_u32 s24, s25
	v_add3_u32 v2, v6, v2, v3
	v_add3_u32 v22, v4, v1, v5
	s_cbranch_scc1 .LBB23_6
; %bb.7:
	v_mov_b32_e32 v23, v2
	s_branch .LBB23_10
.LBB23_8:
                                        ; implicit-def: $vgpr2
                                        ; implicit-def: $vgpr22
	s_andn2_b64 vcc, exec, s[4:5]
	s_cbranch_vccz .LBB23_15
	s_branch .LBB23_17
.LBB23_9:
	s_mov_b32 s25, s24
	v_pk_mov_b32 v[22:23], s[24:25], s[24:25] op_sel:[0,1]
                                        ; implicit-def: $vgpr2
	v_mov_b32_e32 v0, v24
.LBB23_10:
	s_and_b32 s8, s62, 3
	s_cmp_eq_u32 s8, 0
	s_cbranch_scc1 .LBB23_14
; %bb.11:
	s_lshl_b32 s4, s24, 3
	s_add_u32 s4, s4, s34
	s_addc_u32 s5, s35, 0
	s_add_u32 s4, s4, 0xc4
	s_addc_u32 s5, s5, 0
	s_mul_i32 s6, s24, 12
	s_add_u32 s6, s34, s6
	s_addc_u32 s7, s35, 0
.LBB23_12:                              ; =>This Inner Loop Header: Depth=1
	s_load_dwordx2 s[10:11], s[6:7], 0x4
	s_load_dword s9, s[6:7], 0xc
	s_load_dwordx2 s[12:13], s[4:5], 0x0
	s_add_u32 s6, s6, 12
	s_addc_u32 s7, s7, 0
	s_waitcnt lgkmcnt(0)
	v_mul_hi_u32 v1, s11, v0
	v_add_u32_e32 v1, v0, v1
	v_lshrrev_b32_e32 v1, s9, v1
	v_mul_lo_u32 v3, v1, s10
	v_mov_b32_e32 v2, v23
	s_add_u32 s4, s4, 8
	v_sub_u32_e32 v4, v0, v3
	s_addc_u32 s5, s5, 0
	s_add_i32 s8, s8, -1
	v_mad_u64_u32 v[2:3], s[10:11], v4, s13, v[2:3]
	v_mad_u64_u32 v[22:23], s[10:11], v4, s12, v[22:23]
	s_cmp_lg_u32 s8, 0
	v_mov_b32_e32 v0, v1
	v_mov_b32_e32 v23, v2
	s_cbranch_scc1 .LBB23_12
; %bb.13:
	v_mov_b32_e32 v2, v23
.LBB23_14:
	s_cbranch_execnz .LBB23_17
.LBB23_15:
	s_waitcnt lgkmcnt(0)
	v_mul_hi_u32 v0, s45, v24
	v_add_u32_e32 v0, v24, v0
	v_lshrrev_b32_e32 v0, s46, v0
	v_mul_lo_u32 v1, v0, s44
	v_sub_u32_e32 v1, v24, v1
	v_mul_lo_u32 v2, v1, s41
	s_andn2_b64 vcc, exec, s[56:57]
	v_mul_lo_u32 v22, v1, s40
	s_cbranch_vccnz .LBB23_17
; %bb.16:
	v_mul_hi_u32 v1, s54, v0
	v_add_u32_e32 v1, v0, v1
	v_lshrrev_b32_e32 v1, s55, v1
	v_mul_lo_u32 v1, v1, s47
	v_sub_u32_e32 v0, v0, v1
	v_mad_u64_u32 v[22:23], s[4:5], v0, s42, v[22:23]
	v_mad_u64_u32 v[2:3], s[4:5], v0, s43, v[2:3]
.LBB23_17:
	s_waitcnt lgkmcnt(0)
	v_mov_b32_e32 v0, s38
	v_mov_b32_e32 v1, s39
	v_mov_b32_e32 v3, v20
	s_getpc_b64 s[4:5]
	s_add_u32 s4, s4, _ZN2at6native6invokeIZZZNS0_12_GLOBAL__N_130modified_bessel_k0_kernel_cudaERNS_18TensorIteratorBaseEENKUlvE_clEvENKUlvE0_clEvEUlfE_j15function_traitsIS7_EEENT1_11result_typeERKT_PrKPcPKT0_PKN3c1010ScalarTypeEi@rel32@lo+4
	s_addc_u32 s5, s5, _ZN2at6native6invokeIZZZNS0_12_GLOBAL__N_130modified_bessel_k0_kernel_cudaERNS_18TensorIteratorBaseEENKUlvE_clEvENKUlvE0_clEvEUlfE_j15function_traitsIS7_EEENT1_11result_typeERKT_PrKPcPKT0_PKN3c1010ScalarTypeEi@rel32@hi+12
	s_swappc_b64 s[30:31], s[4:5]
	v_mov_b32_e32 v1, s37
	v_add_co_u32_e32 v2, vcc, s36, v22
	v_addc_co_u32_e32 v3, vcc, 0, v1, vcc
	v_mov_b32_e32 v1, 11
	v_cmp_lt_i16_sdwa s[4:5], v21, v1 src0_sel:BYTE_0 src1_sel:DWORD
	s_and_b64 vcc, exec, s[4:5]
	s_cbranch_vccnz .LBB23_24
; %bb.18:
	v_mov_b32_e32 v1, 25
	v_cmp_gt_i16_sdwa s[4:5], v21, v1 src0_sel:BYTE_0 src1_sel:DWORD
	s_and_b64 vcc, exec, s[4:5]
	s_cbranch_vccz .LBB23_27
; %bb.19:
	v_mov_b32_e32 v1, 28
	v_cmp_gt_i16_sdwa s[4:5], v21, v1 src0_sel:BYTE_0 src1_sel:DWORD
	s_and_b64 vcc, exec, s[4:5]
	s_cbranch_vccz .LBB23_28
	;; [unrolled: 5-line block ×4, first 2 shown]
; %bb.22:
	v_mov_b32_e32 v1, 46
	v_cmp_eq_u16_sdwa s[6:7], v21, v1 src0_sel:BYTE_0 src1_sel:DWORD
	s_mov_b64 s[8:9], 0
	s_mov_b64 s[4:5], -1
	s_and_b64 vcc, exec, s[6:7]
	s_mov_b64 s[6:7], 0
	s_cbranch_vccz .LBB23_31
; %bb.23:
	v_bfe_u32 v1, v0, 16, 1
	s_movk_i32 s4, 0x7fff
	v_add3_u32 v1, v0, v1, s4
	v_lshrrev_b32_e32 v1, 16, v1
	v_mov_b32_e32 v4, 0x7fc0
	v_cmp_o_f32_e32 vcc, v0, v0
	v_cndmask_b32_e32 v1, v4, v1, vcc
	global_store_dword v[2:3], v1, off
	s_mov_b64 s[6:7], -1
	s_mov_b64 s[4:5], 0
	s_branch .LBB23_31
.LBB23_24:
	s_mov_b64 s[4:5], 0
	s_mov_b64 s[6:7], 0
	s_cbranch_execnz .LBB23_99
.LBB23_25:
	s_andn2_b64 vcc, exec, s[6:7]
	s_cbranch_vccnz .LBB23_137
.LBB23_26:
	v_add_u32_e32 v24, 0x80, v24
	s_mov_b64 s[6:7], -1
	s_branch .LBB23_138
.LBB23_27:
	s_mov_b64 s[4:5], 0
	s_mov_b64 s[6:7], 0
	s_cbranch_execnz .LBB23_58
	s_branch .LBB23_98
.LBB23_28:
	s_mov_b64 s[8:9], -1
	s_mov_b64 s[4:5], 0
	s_mov_b64 s[6:7], 0
	s_branch .LBB23_41
.LBB23_29:
	s_mov_b64 s[8:9], -1
	s_mov_b64 s[4:5], 0
	s_mov_b64 s[6:7], 0
	s_branch .LBB23_37
.LBB23_30:
	s_mov_b64 s[8:9], -1
	s_mov_b64 s[4:5], 0
	s_mov_b64 s[6:7], 0
.LBB23_31:
	s_and_b64 vcc, exec, s[8:9]
	s_cbranch_vccz .LBB23_36
; %bb.32:
	v_mov_b32_e32 v1, 44
	v_cmp_eq_u16_sdwa s[8:9], v21, v1 src0_sel:BYTE_0 src1_sel:DWORD
	s_mov_b64 s[4:5], -1
	s_and_b64 vcc, exec, s[8:9]
	s_cbranch_vccz .LBB23_36
; %bb.33:
	v_bfe_u32 v1, v0, 23, 8
	s_movk_i32 s4, 0xff
	v_cmp_ne_u32_e32 vcc, s4, v1
	v_mov_b32_e32 v4, 0xff
	s_and_saveexec_b64 s[6:7], vcc
; %bb.34:
	s_mov_b32 s4, 0x3fffff
	v_and_b32_e32 v5, 0x400000, v0
	v_and_or_b32 v1, v0, s4, v1
	v_cmp_ne_u32_e32 vcc, 0, v5
	v_cmp_ne_u32_e64 s[4:5], 0, v1
	s_and_b64 s[4:5], vcc, s[4:5]
	v_lshrrev_b32_e32 v4, 23, v0
	v_cndmask_b32_e64 v1, 0, 1, s[4:5]
	v_add_u32_e32 v4, v4, v1
; %bb.35:
	s_or_b64 exec, exec, s[6:7]
	s_mov_b64 s[6:7], -1
	s_mov_b64 s[4:5], 0
	global_store_byte v[2:3], v4, off
.LBB23_36:
	s_mov_b64 s[8:9], 0
.LBB23_37:
	s_and_b64 vcc, exec, s[8:9]
	s_cbranch_vccz .LBB23_40
; %bb.38:
	v_mov_b32_e32 v1, 29
	v_cmp_eq_u16_sdwa s[8:9], v21, v1 src0_sel:BYTE_0 src1_sel:DWORD
	s_mov_b64 s[4:5], -1
	s_and_b64 vcc, exec, s[8:9]
	s_cbranch_vccz .LBB23_40
; %bb.39:
	v_trunc_f32_e32 v1, v0
	v_mul_f32_e32 v4, 0x2f800000, v1
	v_floor_f32_e32 v4, v4
	v_fmac_f32_e32 v1, 0xcf800000, v4
	v_cvt_u32_f32_e32 v5, v4
	v_cvt_u32_f32_e32 v4, v1
	s_mov_b64 s[6:7], -1
	s_mov_b64 s[4:5], 0
	s_mov_b64 s[8:9], 0
	global_store_dwordx2 v[2:3], v[4:5], off
	s_branch .LBB23_41
.LBB23_40:
	s_mov_b64 s[8:9], 0
.LBB23_41:
	s_and_b64 vcc, exec, s[8:9]
	s_cbranch_vccz .LBB23_57
; %bb.42:
	v_mov_b32_e32 v1, 27
	v_cmp_lt_i16_sdwa s[8:9], v21, v1 src0_sel:BYTE_0 src1_sel:DWORD
	s_mov_b64 s[6:7], -1
	s_and_b64 vcc, exec, s[8:9]
	s_cbranch_vccnz .LBB23_48
; %bb.43:
	v_cmp_gt_i16_sdwa s[8:9], v21, v1 src0_sel:BYTE_0 src1_sel:DWORD
	s_and_b64 vcc, exec, s[8:9]
	s_cbranch_vccz .LBB23_45
; %bb.44:
	v_cvt_u32_f32_e32 v1, v0
	s_mov_b64 s[6:7], 0
	global_store_dword v[2:3], v1, off
.LBB23_45:
	s_andn2_b64 vcc, exec, s[6:7]
	s_cbranch_vccnz .LBB23_47
; %bb.46:
	v_cvt_u32_f32_e32 v1, v0
	global_store_short v[2:3], v1, off
.LBB23_47:
	s_mov_b64 s[6:7], 0
.LBB23_48:
	s_andn2_b64 vcc, exec, s[6:7]
	s_cbranch_vccnz .LBB23_56
; %bb.49:
	v_and_b32_e32 v1, 0x7fffffff, v0
	s_mov_b32 s6, 0x43800000
	v_cmp_gt_u32_e32 vcc, s6, v1
	v_mov_b32_e32 v4, 0x80
	s_and_saveexec_b64 s[6:7], vcc
	s_cbranch_execz .LBB23_55
; %bb.50:
	s_mov_b32 s8, 0x3bffffff
	v_cmp_lt_u32_e32 vcc, s8, v1
	s_mov_b64 s[8:9], 0
                                        ; implicit-def: $vgpr1
	s_and_saveexec_b64 s[10:11], vcc
	s_xor_b64 s[10:11], exec, s[10:11]
	s_cbranch_execz .LBB23_171
; %bb.51:
	v_bfe_u32 v1, v0, 20, 1
	s_mov_b32 s12, 0x487ffff
	v_add3_u32 v1, v0, v1, s12
	s_mov_b64 s[8:9], exec
	v_lshrrev_b32_e32 v1, 20, v1
	s_or_saveexec_b64 s[10:11], s[10:11]
                                        ; implicit-def: $sgpr12
	s_xor_b64 exec, exec, s[10:11]
	s_cbranch_execnz .LBB23_172
.LBB23_52:
	s_or_b64 exec, exec, s[10:11]
	v_mov_b32_e32 v4, s12
	s_and_saveexec_b64 s[10:11], s[8:9]
.LBB23_53:
	v_lshrrev_b32_e32 v4, 24, v0
	s_movk_i32 s8, 0x80
	v_and_or_b32 v4, v4, s8, v1
.LBB23_54:
	s_or_b64 exec, exec, s[10:11]
.LBB23_55:
	s_or_b64 exec, exec, s[6:7]
	global_store_byte v[2:3], v4, off
.LBB23_56:
	s_mov_b64 s[6:7], -1
.LBB23_57:
	s_branch .LBB23_98
.LBB23_58:
	v_mov_b32_e32 v1, 22
	v_cmp_gt_i16_sdwa s[10:11], v21, v1 src0_sel:BYTE_0 src1_sel:DWORD
	s_mov_b64 s[8:9], -1
	s_and_b64 vcc, exec, s[10:11]
	s_cbranch_vccz .LBB23_90
; %bb.59:
	v_mov_b32_e32 v1, 24
	v_cmp_lt_i16_sdwa s[8:9], v21, v1 src0_sel:BYTE_0 src1_sel:DWORD
	s_mov_b64 s[6:7], -1
	s_and_b64 vcc, exec, s[8:9]
	s_cbranch_vccnz .LBB23_79
; %bb.60:
	v_cmp_gt_i16_sdwa s[8:9], v21, v1 src0_sel:BYTE_0 src1_sel:DWORD
	s_and_b64 vcc, exec, s[8:9]
	s_cbranch_vccz .LBB23_68
; %bb.61:
	v_and_b32_e32 v1, 0x7fffffff, v0
	s_mov_b32 s6, 0x47800000
	v_cmp_gt_u32_e32 vcc, s6, v1
	v_mov_b32_e32 v4, 0x80
	s_and_saveexec_b64 s[6:7], vcc
	s_cbranch_execz .LBB23_67
; %bb.62:
	s_mov_b32 s8, 0x37ffffff
	v_cmp_lt_u32_e32 vcc, s8, v1
	s_mov_b64 s[8:9], 0
                                        ; implicit-def: $vgpr1
	s_and_saveexec_b64 s[10:11], vcc
	s_xor_b64 s[10:11], exec, s[10:11]
	s_cbranch_execz .LBB23_174
; %bb.63:
	v_bfe_u32 v1, v0, 21, 1
	s_mov_b32 s12, 0x88fffff
	v_add3_u32 v1, v0, v1, s12
	s_mov_b64 s[8:9], exec
	v_lshrrev_b32_e32 v1, 21, v1
	s_or_saveexec_b64 s[10:11], s[10:11]
                                        ; implicit-def: $sgpr12
	s_xor_b64 exec, exec, s[10:11]
	s_cbranch_execnz .LBB23_175
.LBB23_64:
	s_or_b64 exec, exec, s[10:11]
	v_mov_b32_e32 v4, s12
	s_and_saveexec_b64 s[10:11], s[8:9]
.LBB23_65:
	v_lshrrev_b32_e32 v4, 24, v0
	s_movk_i32 s8, 0x80
	v_and_or_b32 v4, v4, s8, v1
.LBB23_66:
	s_or_b64 exec, exec, s[10:11]
.LBB23_67:
	s_or_b64 exec, exec, s[6:7]
	s_mov_b64 s[6:7], 0
	global_store_byte v[2:3], v4, off
.LBB23_68:
	s_and_b64 vcc, exec, s[6:7]
	s_cbranch_vccz .LBB23_78
; %bb.69:
	v_and_b32_e32 v4, 0x7fffffff, v0
	s_mov_b32 s6, 0x43f00000
	v_cmp_gt_u32_e32 vcc, s6, v4
                                        ; implicit-def: $vgpr1
	s_and_saveexec_b64 s[6:7], vcc
	s_xor_b64 s[6:7], exec, s[6:7]
	s_cbranch_execz .LBB23_75
; %bb.70:
	s_mov_b32 s8, 0x3c7fffff
	v_cmp_lt_u32_e32 vcc, s8, v4
                                        ; implicit-def: $vgpr1
	s_and_saveexec_b64 s[8:9], vcc
	s_xor_b64 s[8:9], exec, s[8:9]
; %bb.71:
	v_bfe_u32 v1, v0, 20, 1
	s_mov_b32 s10, 0x407ffff
	v_add3_u32 v1, v0, v1, s10
	v_lshrrev_b32_e32 v4, 20, v1
	v_and_b32_e32 v1, 0xff00000, v1
	s_mov_b32 s10, 0x7f00000
	v_mov_b32_e32 v5, 0x7e
	v_cmp_ne_u32_e32 vcc, s10, v1
	v_cndmask_b32_e32 v1, v5, v4, vcc
; %bb.72:
	s_andn2_saveexec_b64 s[8:9], s[8:9]
; %bb.73:
	s_mov_b32 s10, 0x46800000
	v_add_f32_e64 v1, |v0|, s10
; %bb.74:
	s_or_b64 exec, exec, s[8:9]
                                        ; implicit-def: $vgpr4
.LBB23_75:
	s_andn2_saveexec_b64 s[6:7], s[6:7]
; %bb.76:
	s_mov_b32 s8, 0x7f800000
	v_mov_b32_e32 v1, 0x7e
	v_mov_b32_e32 v5, 0x7f
	v_cmp_lt_u32_e32 vcc, s8, v4
	v_cndmask_b32_e32 v1, v1, v5, vcc
; %bb.77:
	s_or_b64 exec, exec, s[6:7]
	v_lshrrev_b32_e32 v4, 24, v0
	s_movk_i32 s6, 0x80
	v_and_or_b32 v1, v4, s6, v1
	global_store_byte v[2:3], v1, off
.LBB23_78:
	s_mov_b64 s[6:7], 0
.LBB23_79:
	s_andn2_b64 vcc, exec, s[6:7]
	s_cbranch_vccnz .LBB23_89
; %bb.80:
	v_and_b32_e32 v4, 0x7fffffff, v0
	s_mov_b32 s6, 0x47800000
	v_cmp_gt_u32_e32 vcc, s6, v4
                                        ; implicit-def: $vgpr1
	s_and_saveexec_b64 s[6:7], vcc
	s_xor_b64 s[6:7], exec, s[6:7]
	s_cbranch_execz .LBB23_86
; %bb.81:
	s_mov_b32 s8, 0x387fffff
	v_cmp_lt_u32_e32 vcc, s8, v4
                                        ; implicit-def: $vgpr1
	s_and_saveexec_b64 s[8:9], vcc
	s_xor_b64 s[8:9], exec, s[8:9]
; %bb.82:
	v_bfe_u32 v1, v0, 21, 1
	s_mov_b32 s10, 0x80fffff
	v_add3_u32 v1, v0, v1, s10
	v_lshrrev_b32_e32 v1, 21, v1
; %bb.83:
	s_andn2_saveexec_b64 s[8:9], s[8:9]
; %bb.84:
	s_mov_b32 s10, 0x43000000
	v_add_f32_e64 v1, |v0|, s10
; %bb.85:
	s_or_b64 exec, exec, s[8:9]
                                        ; implicit-def: $vgpr4
.LBB23_86:
	s_andn2_saveexec_b64 s[6:7], s[6:7]
; %bb.87:
	s_mov_b32 s8, 0x7f800000
	v_mov_b32_e32 v1, 0x7c
	v_mov_b32_e32 v5, 0x7f
	v_cmp_lt_u32_e32 vcc, s8, v4
	v_cndmask_b32_e32 v1, v1, v5, vcc
; %bb.88:
	s_or_b64 exec, exec, s[6:7]
	v_lshrrev_b32_e32 v4, 24, v0
	s_movk_i32 s6, 0x80
	v_and_or_b32 v1, v4, s6, v1
	global_store_byte v[2:3], v1, off
.LBB23_89:
	s_mov_b64 s[8:9], 0
	s_mov_b64 s[6:7], -1
.LBB23_90:
	s_andn2_b64 vcc, exec, s[8:9]
	s_cbranch_vccnz .LBB23_98
; %bb.91:
	v_mov_b32_e32 v1, 14
	v_cmp_gt_i16_sdwa s[10:11], v21, v1 src0_sel:BYTE_0 src1_sel:DWORD
	s_mov_b64 s[8:9], -1
	s_and_b64 vcc, exec, s[10:11]
	s_cbranch_vccz .LBB23_95
; %bb.92:
	v_mov_b32_e32 v1, 15
	v_cmp_eq_u16_sdwa s[8:9], v21, v1 src0_sel:BYTE_0 src1_sel:DWORD
	s_mov_b64 s[4:5], -1
	s_and_b64 vcc, exec, s[8:9]
	s_cbranch_vccz .LBB23_94
; %bb.93:
	v_bfe_u32 v1, v0, 16, 1
	s_movk_i32 s4, 0x7fff
	v_add3_u32 v1, v0, v1, s4
	v_lshrrev_b32_e32 v1, 16, v1
	v_mov_b32_e32 v4, 0x7fc0
	v_cmp_o_f32_e32 vcc, v0, v0
	v_cndmask_b32_e32 v1, v4, v1, vcc
	global_store_short v[2:3], v1, off
	s_mov_b64 s[6:7], -1
	s_mov_b64 s[4:5], 0
.LBB23_94:
	s_mov_b64 s[8:9], 0
.LBB23_95:
	s_and_b64 vcc, exec, s[8:9]
	s_cbranch_vccz .LBB23_98
; %bb.96:
	v_mov_b32_e32 v1, 11
	v_cmp_eq_u16_sdwa s[8:9], v21, v1 src0_sel:BYTE_0 src1_sel:DWORD
	s_mov_b64 s[4:5], -1
	s_and_b64 vcc, exec, s[8:9]
	s_cbranch_vccz .LBB23_98
; %bb.97:
	v_cmp_neq_f32_e32 vcc, 0, v0
	v_cndmask_b32_e64 v1, 0, 1, vcc
	s_mov_b64 s[6:7], -1
	s_mov_b64 s[4:5], 0
	global_store_byte v[2:3], v1, off
.LBB23_98:
	s_branch .LBB23_25
.LBB23_99:
	v_mov_b32_e32 v1, 5
	v_cmp_lt_i16_sdwa s[8:9], v21, v1 src0_sel:BYTE_0 src1_sel:DWORD
	s_mov_b64 s[6:7], -1
	s_and_b64 vcc, exec, s[8:9]
	s_cbranch_vccnz .LBB23_120
; %bb.100:
	v_mov_b32_e32 v1, 8
	v_cmp_lt_i16_sdwa s[8:9], v21, v1 src0_sel:BYTE_0 src1_sel:DWORD
	s_and_b64 vcc, exec, s[8:9]
	s_cbranch_vccnz .LBB23_110
; %bb.101:
	v_mov_b32_e32 v1, 9
	v_cmp_lt_i16_sdwa s[8:9], v21, v1 src0_sel:BYTE_0 src1_sel:DWORD
	s_and_b64 vcc, exec, s[8:9]
	s_cbranch_vccnz .LBB23_107
; %bb.102:
	v_cmp_gt_i16_sdwa s[8:9], v21, v1 src0_sel:BYTE_0 src1_sel:DWORD
	s_and_b64 vcc, exec, s[8:9]
	s_cbranch_vccz .LBB23_104
; %bb.103:
	v_mov_b32_e32 v6, 0
	v_cvt_f64_f32_e32 v[4:5], v0
	v_mov_b32_e32 v7, v6
	global_store_dwordx4 v[2:3], v[4:7], off
	s_mov_b64 s[6:7], 0
.LBB23_104:
	s_andn2_b64 vcc, exec, s[6:7]
	s_cbranch_vccnz .LBB23_106
; %bb.105:
	v_mov_b32_e32 v1, 0
	global_store_dwordx2 v[2:3], v[0:1], off
.LBB23_106:
	s_mov_b64 s[6:7], 0
.LBB23_107:
	s_andn2_b64 vcc, exec, s[6:7]
	s_cbranch_vccnz .LBB23_109
; %bb.108:
	v_cvt_f16_f32_e32 v1, v0
	global_store_dword v[2:3], v1, off
.LBB23_109:
	s_mov_b64 s[6:7], 0
.LBB23_110:
	s_andn2_b64 vcc, exec, s[6:7]
	s_cbranch_vccnz .LBB23_119
; %bb.111:
	v_mov_b32_e32 v1, 6
	v_cmp_lt_i16_sdwa s[8:9], v21, v1 src0_sel:BYTE_0 src1_sel:DWORD
	s_mov_b64 s[6:7], -1
	s_and_b64 vcc, exec, s[8:9]
	s_cbranch_vccnz .LBB23_117
; %bb.112:
	v_cmp_gt_i16_sdwa s[8:9], v21, v1 src0_sel:BYTE_0 src1_sel:DWORD
	s_and_b64 vcc, exec, s[8:9]
	s_cbranch_vccz .LBB23_114
; %bb.113:
	v_cvt_f64_f32_e32 v[4:5], v0
	global_store_dwordx2 v[2:3], v[4:5], off
	s_mov_b64 s[6:7], 0
.LBB23_114:
	s_andn2_b64 vcc, exec, s[6:7]
	s_cbranch_vccnz .LBB23_116
; %bb.115:
	global_store_dword v[2:3], v0, off
.LBB23_116:
	s_mov_b64 s[6:7], 0
.LBB23_117:
	s_andn2_b64 vcc, exec, s[6:7]
	s_cbranch_vccnz .LBB23_119
; %bb.118:
	v_cvt_f16_f32_e32 v1, v0
	global_store_short v[2:3], v1, off
.LBB23_119:
	s_mov_b64 s[6:7], 0
.LBB23_120:
	s_andn2_b64 vcc, exec, s[6:7]
	s_cbranch_vccnz .LBB23_136
; %bb.121:
	v_mov_b32_e32 v1, 2
	v_cmp_lt_i16_sdwa s[8:9], v21, v1 src0_sel:BYTE_0 src1_sel:DWORD
	s_mov_b64 s[6:7], -1
	s_and_b64 vcc, exec, s[8:9]
	s_cbranch_vccnz .LBB23_131
; %bb.122:
	v_mov_b32_e32 v1, 3
	v_cmp_lt_i16_sdwa s[8:9], v21, v1 src0_sel:BYTE_0 src1_sel:DWORD
	s_and_b64 vcc, exec, s[8:9]
	s_cbranch_vccnz .LBB23_128
; %bb.123:
	v_cmp_gt_i16_sdwa s[8:9], v21, v1 src0_sel:BYTE_0 src1_sel:DWORD
	s_and_b64 vcc, exec, s[8:9]
	s_cbranch_vccz .LBB23_125
; %bb.124:
	v_trunc_f32_e32 v1, v0
	s_mov_b32 s6, 0x2f800000
	v_mul_f32_e64 v4, |v1|, s6
	v_floor_f32_e32 v4, v4
	s_mov_b32 s6, 0xcf800000
	v_cvt_u32_f32_e32 v5, v4
	v_fma_f32 v4, v4, s6, |v1|
	v_cvt_u32_f32_e32 v4, v4
	v_ashrrev_i32_e32 v1, 31, v1
	v_xor_b32_e32 v5, v5, v1
	s_mov_b64 s[6:7], 0
	v_xor_b32_e32 v4, v4, v1
	v_sub_co_u32_e32 v4, vcc, v4, v1
	v_subb_co_u32_e32 v5, vcc, v5, v1, vcc
	global_store_dwordx2 v[2:3], v[4:5], off
.LBB23_125:
	s_andn2_b64 vcc, exec, s[6:7]
	s_cbranch_vccnz .LBB23_127
; %bb.126:
	v_cvt_i32_f32_e32 v1, v0
	global_store_dword v[2:3], v1, off
.LBB23_127:
	s_mov_b64 s[6:7], 0
.LBB23_128:
	s_andn2_b64 vcc, exec, s[6:7]
	s_cbranch_vccnz .LBB23_130
; %bb.129:
	v_cvt_i32_f32_e32 v1, v0
	global_store_short v[2:3], v1, off
.LBB23_130:
	s_mov_b64 s[6:7], 0
.LBB23_131:
	s_andn2_b64 vcc, exec, s[6:7]
	s_cbranch_vccnz .LBB23_136
; %bb.132:
	v_mov_b32_e32 v1, 0
	v_cmp_gt_i16_sdwa s[8:9], v21, v1 src0_sel:BYTE_0 src1_sel:DWORD
	s_mov_b64 s[6:7], -1
	s_and_b64 vcc, exec, s[8:9]
	s_cbranch_vccz .LBB23_134
; %bb.133:
	v_cvt_i32_f32_e32 v1, v0
	s_mov_b64 s[6:7], 0
	global_store_byte v[2:3], v1, off
.LBB23_134:
	s_andn2_b64 vcc, exec, s[6:7]
	s_cbranch_vccnz .LBB23_136
; %bb.135:
	v_trunc_f32_e32 v0, v0
	s_mov_b32 s6, 0x2f800000
	v_mul_f32_e64 v1, |v0|, s6
	v_floor_f32_e32 v1, v1
	s_mov_b32 s6, 0xcf800000
	v_fma_f32 v1, v1, s6, |v0|
	v_cvt_u32_f32_e32 v1, v1
	v_ashrrev_i32_e32 v0, 31, v0
	v_xor_b32_e32 v1, v1, v0
	v_sub_u32_e32 v0, v1, v0
	global_store_byte v[2:3], v0, off
.LBB23_136:
	s_branch .LBB23_26
.LBB23_137:
	s_mov_b64 s[6:7], 0
                                        ; implicit-def: $vgpr24
.LBB23_138:
	s_and_b64 s[62:63], s[4:5], exec
	s_orn2_b64 s[4:5], s[6:7], exec
.LBB23_139:
	s_or_b64 exec, exec, s[64:65]
	s_mov_b64 s[6:7], 0
                                        ; implicit-def: $vgpr4
                                        ; implicit-def: $vgpr2_vgpr3
                                        ; implicit-def: $vgpr0
	s_and_saveexec_b64 s[64:65], s[4:5]
	s_cbranch_execz .LBB23_147
; %bb.140:
	v_cmp_gt_i32_e32 vcc, s74, v24
	s_mov_b64 s[8:9], -1
	s_mov_b64 s[66:67], s[62:63]
	s_and_saveexec_b64 s[68:69], vcc
	s_cbranch_execz .LBB23_286
; %bb.141:
	s_andn2_b64 vcc, exec, s[50:51]
	s_cbranch_vccnz .LBB23_150
; %bb.142:
	s_mov_b32 s24, 0
	s_andn2_b64 vcc, exec, s[60:61]
	v_mov_b32_e32 v2, 0
	v_mov_b32_e32 v22, 0
	s_cbranch_vccnz .LBB23_156
; %bb.143:
	s_add_i32 s66, s77, 1
	s_cmp_eq_u32 s76, 2
	s_cbranch_scc1 .LBB23_151
; %bb.144:
	s_and_b32 s24, s66, 28
	s_mov_b32 s25, 0
	v_mov_b32_e32 v22, 0
	s_mov_b64 s[26:27], s[34:35]
	s_mov_b64 s[30:31], s[58:59]
	v_mov_b32_e32 v0, v24
	v_mov_b32_e32 v2, 0
.LBB23_145:                             ; =>This Inner Loop Header: Depth=1
	s_load_dwordx8 s[12:19], s[26:27], 0x4
	s_load_dwordx4 s[20:23], s[26:27], 0x24
	s_load_dwordx8 s[4:11], s[30:31], 0x0
	s_add_u32 s26, s26, 48
	s_addc_u32 s27, s27, 0
	s_waitcnt lgkmcnt(0)
	v_mul_hi_u32 v1, s13, v0
	v_add_u32_e32 v1, v0, v1
	v_lshrrev_b32_e32 v1, s14, v1
	v_mul_lo_u32 v3, v1, s12
	v_mul_hi_u32 v4, s16, v1
	v_sub_u32_e32 v0, v0, v3
	v_add_u32_e32 v3, v1, v4
	v_lshrrev_b32_e32 v3, s17, v3
	v_mul_lo_u32 v5, v3, s15
	v_mul_hi_u32 v6, s19, v3
	v_sub_u32_e32 v1, v1, v5
	v_add_u32_e32 v5, v3, v6
	v_mul_lo_u32 v4, v0, s5
	v_mul_lo_u32 v0, v0, s4
	;; [unrolled: 1-line block ×4, first 2 shown]
	v_lshrrev_b32_e32 v5, s20, v5
	v_add3_u32 v1, v0, v22, v1
	v_add3_u32 v2, v4, v2, v6
	v_mul_lo_u32 v0, v5, s18
	v_mul_hi_u32 v4, s22, v5
	v_sub_u32_e32 v0, v3, v0
	v_add_u32_e32 v3, v5, v4
	v_mul_lo_u32 v4, v0, s8
	v_mul_lo_u32 v6, v0, s9
	v_lshrrev_b32_e32 v0, s23, v3
	s_add_i32 s25, s25, 4
	v_mul_lo_u32 v3, v0, s21
	s_add_u32 s30, s30, 32
	v_sub_u32_e32 v3, v5, v3
	s_addc_u32 s31, s31, 0
	v_mul_lo_u32 v5, v3, s10
	v_mul_lo_u32 v3, v3, s11
	s_cmp_eq_u32 s24, s25
	v_add3_u32 v2, v6, v2, v3
	v_add3_u32 v22, v4, v1, v5
	s_cbranch_scc0 .LBB23_145
; %bb.146:
	v_mov_b32_e32 v23, v2
	s_branch .LBB23_152
.LBB23_147:
	s_or_b64 exec, exec, s[64:65]
	s_mov_b64 s[4:5], 0
	s_and_saveexec_b64 s[8:9], s[62:63]
	s_cbranch_execnz .LBB23_530
.LBB23_148:
	s_or_b64 exec, exec, s[8:9]
	s_and_saveexec_b64 s[8:9], s[68:69]
	s_xor_b64 s[8:9], exec, s[8:9]
	s_cbranch_execz .LBB23_531
.LBB23_149:
	v_cmp_neq_f32_e32 vcc, 0, v0
	v_cndmask_b32_e64 v1, 0, 1, vcc
	global_store_byte v[2:3], v1, off
	s_or_b64 exec, exec, s[8:9]
	s_and_saveexec_b64 s[8:9], s[6:7]
	s_xor_b64 s[6:7], exec, s[8:9]
	s_cbranch_execz .LBB23_569
	s_branch .LBB23_532
.LBB23_150:
                                        ; implicit-def: $vgpr2
                                        ; implicit-def: $vgpr22
	s_branch .LBB23_157
.LBB23_151:
	s_mov_b32 s25, s24
	v_pk_mov_b32 v[22:23], s[24:25], s[24:25] op_sel:[0,1]
                                        ; implicit-def: $vgpr2
	v_mov_b32_e32 v0, v24
.LBB23_152:
	s_and_b32 s8, s66, 3
	s_cmp_eq_u32 s8, 0
	s_cbranch_scc1 .LBB23_156
; %bb.153:
	s_lshl_b32 s4, s24, 3
	s_add_u32 s4, s4, s34
	s_addc_u32 s5, s35, 0
	s_add_u32 s4, s4, 0xc4
	s_addc_u32 s5, s5, 0
	s_mul_i32 s6, s24, 12
	s_add_u32 s6, s34, s6
	s_addc_u32 s7, s35, 0
.LBB23_154:                             ; =>This Inner Loop Header: Depth=1
	s_load_dwordx2 s[10:11], s[6:7], 0x4
	s_load_dword s9, s[6:7], 0xc
	s_load_dwordx2 s[12:13], s[4:5], 0x0
	s_add_u32 s6, s6, 12
	s_addc_u32 s7, s7, 0
	s_waitcnt lgkmcnt(0)
	v_mul_hi_u32 v1, s11, v0
	v_add_u32_e32 v1, v0, v1
	v_lshrrev_b32_e32 v1, s9, v1
	v_mul_lo_u32 v3, v1, s10
	v_mov_b32_e32 v2, v23
	s_add_u32 s4, s4, 8
	v_sub_u32_e32 v4, v0, v3
	s_addc_u32 s5, s5, 0
	s_add_i32 s8, s8, -1
	v_mad_u64_u32 v[2:3], s[10:11], v4, s13, v[2:3]
	v_mad_u64_u32 v[22:23], s[10:11], v4, s12, v[22:23]
	s_cmp_lg_u32 s8, 0
	v_mov_b32_e32 v0, v1
	v_mov_b32_e32 v23, v2
	s_cbranch_scc1 .LBB23_154
; %bb.155:
	v_mov_b32_e32 v2, v23
.LBB23_156:
	s_cbranch_execnz .LBB23_159
.LBB23_157:
	s_waitcnt lgkmcnt(0)
	v_mul_hi_u32 v0, s45, v24
	v_add_u32_e32 v0, v24, v0
	v_lshrrev_b32_e32 v0, s46, v0
	v_mul_lo_u32 v1, v0, s44
	v_sub_u32_e32 v1, v24, v1
	v_mul_lo_u32 v2, v1, s41
	s_andn2_b64 vcc, exec, s[56:57]
	v_mul_lo_u32 v22, v1, s40
	s_cbranch_vccnz .LBB23_159
; %bb.158:
	v_mul_hi_u32 v1, s54, v0
	v_add_u32_e32 v1, v0, v1
	v_lshrrev_b32_e32 v1, s55, v1
	v_mul_lo_u32 v1, v1, s47
	v_sub_u32_e32 v0, v0, v1
	v_mad_u64_u32 v[22:23], s[4:5], v0, s42, v[22:23]
	v_mad_u64_u32 v[2:3], s[4:5], v0, s43, v[2:3]
.LBB23_159:
	s_waitcnt lgkmcnt(0)
	v_mov_b32_e32 v0, s38
	v_mov_b32_e32 v1, s39
	;; [unrolled: 1-line block ×3, first 2 shown]
	s_getpc_b64 s[4:5]
	s_add_u32 s4, s4, _ZN2at6native6invokeIZZZNS0_12_GLOBAL__N_130modified_bessel_k0_kernel_cudaERNS_18TensorIteratorBaseEENKUlvE_clEvENKUlvE0_clEvEUlfE_j15function_traitsIS7_EEENT1_11result_typeERKT_PrKPcPKT0_PKN3c1010ScalarTypeEi@rel32@lo+4
	s_addc_u32 s5, s5, _ZN2at6native6invokeIZZZNS0_12_GLOBAL__N_130modified_bessel_k0_kernel_cudaERNS_18TensorIteratorBaseEENKUlvE_clEvENKUlvE0_clEvEUlfE_j15function_traitsIS7_EEENT1_11result_typeERKT_PrKPcPKT0_PKN3c1010ScalarTypeEi@rel32@hi+12
	s_swappc_b64 s[30:31], s[4:5]
	v_mov_b32_e32 v1, s37
	v_add_co_u32_e32 v2, vcc, s36, v22
	v_addc_co_u32_e32 v3, vcc, 0, v1, vcc
	v_mov_b32_e32 v1, 11
	v_cmp_lt_i16_sdwa s[4:5], v21, v1 src0_sel:BYTE_0 src1_sel:DWORD
	s_and_b64 vcc, exec, s[4:5]
	s_cbranch_vccnz .LBB23_166
; %bb.160:
	v_mov_b32_e32 v1, 25
	v_cmp_gt_i16_sdwa s[4:5], v21, v1 src0_sel:BYTE_0 src1_sel:DWORD
	s_and_b64 vcc, exec, s[4:5]
	s_cbranch_vccz .LBB23_169
; %bb.161:
	v_mov_b32_e32 v1, 28
	v_cmp_gt_i16_sdwa s[4:5], v21, v1 src0_sel:BYTE_0 src1_sel:DWORD
	s_and_b64 vcc, exec, s[4:5]
	s_cbranch_vccz .LBB23_170
	;; [unrolled: 5-line block ×4, first 2 shown]
; %bb.164:
	v_mov_b32_e32 v1, 46
	v_cmp_eq_u16_sdwa s[6:7], v21, v1 src0_sel:BYTE_0 src1_sel:DWORD
	s_mov_b64 s[8:9], 0
	s_mov_b64 s[4:5], -1
	s_and_b64 vcc, exec, s[6:7]
	s_mov_b64 s[6:7], 0
	s_cbranch_vccz .LBB23_177
; %bb.165:
	v_bfe_u32 v1, v0, 16, 1
	s_movk_i32 s4, 0x7fff
	v_add3_u32 v1, v0, v1, s4
	v_lshrrev_b32_e32 v1, 16, v1
	v_mov_b32_e32 v4, 0x7fc0
	v_cmp_o_f32_e32 vcc, v0, v0
	v_cndmask_b32_e32 v1, v4, v1, vcc
	global_store_dword v[2:3], v1, off
	s_mov_b64 s[6:7], -1
	s_mov_b64 s[4:5], 0
	s_branch .LBB23_177
.LBB23_166:
	s_mov_b64 s[6:7], 0
	s_mov_b64 s[4:5], s[62:63]
	s_cbranch_execnz .LBB23_246
.LBB23_167:
	s_andn2_b64 vcc, exec, s[6:7]
	s_cbranch_vccnz .LBB23_284
.LBB23_168:
	v_add_u32_e32 v24, 0x80, v24
	s_mov_b64 s[6:7], -1
	s_branch .LBB23_285
.LBB23_169:
	s_mov_b64 s[8:9], -1
	s_mov_b64 s[6:7], 0
	s_mov_b64 s[4:5], s[62:63]
	s_branch .LBB23_204
.LBB23_170:
	s_mov_b64 s[8:9], -1
	s_mov_b64 s[6:7], 0
	s_mov_b64 s[4:5], s[62:63]
	s_branch .LBB23_187
.LBB23_171:
	s_or_saveexec_b64 s[10:11], s[10:11]
                                        ; implicit-def: $sgpr12
	s_xor_b64 exec, exec, s[10:11]
	s_cbranch_execz .LBB23_52
.LBB23_172:
	s_mov_b32 s12, 0x46000000
	v_add_f32_e64 v1, |v0|, s12
	v_and_b32_e32 v1, 0xff, v1
	v_cmp_ne_u32_e32 vcc, 0, v1
	s_andn2_b64 s[8:9], s[8:9], exec
	s_and_b64 s[14:15], vcc, exec
	s_mov_b32 s12, 0
	s_or_b64 s[8:9], s[8:9], s[14:15]
	s_or_b64 exec, exec, s[10:11]
	v_mov_b32_e32 v4, s12
	s_and_saveexec_b64 s[10:11], s[8:9]
	s_cbranch_execnz .LBB23_53
	s_branch .LBB23_54
.LBB23_173:
	s_mov_b64 s[8:9], -1
	s_mov_b64 s[6:7], 0
	s_mov_b64 s[4:5], s[62:63]
	s_branch .LBB23_183
.LBB23_174:
	s_or_saveexec_b64 s[10:11], s[10:11]
                                        ; implicit-def: $sgpr12
	s_xor_b64 exec, exec, s[10:11]
	s_cbranch_execz .LBB23_64
.LBB23_175:
	s_mov_b32 s12, 0x42800000
	v_add_f32_e64 v1, |v0|, s12
	v_and_b32_e32 v1, 0xff, v1
	v_cmp_ne_u32_e32 vcc, 0, v1
	s_andn2_b64 s[8:9], s[8:9], exec
	s_and_b64 s[14:15], vcc, exec
	s_mov_b32 s12, 0
	s_or_b64 s[8:9], s[8:9], s[14:15]
	s_or_b64 exec, exec, s[10:11]
	v_mov_b32_e32 v4, s12
	s_and_saveexec_b64 s[10:11], s[8:9]
	s_cbranch_execnz .LBB23_65
	s_branch .LBB23_66
.LBB23_176:
	s_mov_b64 s[8:9], -1
	s_mov_b64 s[6:7], 0
	s_mov_b64 s[4:5], s[62:63]
.LBB23_177:
	s_and_b64 vcc, exec, s[8:9]
	s_cbranch_vccz .LBB23_182
; %bb.178:
	v_mov_b32_e32 v1, 44
	v_cmp_eq_u16_sdwa s[8:9], v21, v1 src0_sel:BYTE_0 src1_sel:DWORD
	s_mov_b64 s[4:5], -1
	s_and_b64 vcc, exec, s[8:9]
	s_cbranch_vccz .LBB23_182
; %bb.179:
	v_bfe_u32 v1, v0, 23, 8
	s_movk_i32 s4, 0xff
	v_cmp_ne_u32_e32 vcc, s4, v1
	v_mov_b32_e32 v4, 0xff
	s_and_saveexec_b64 s[6:7], vcc
; %bb.180:
	s_mov_b32 s4, 0x3fffff
	v_and_b32_e32 v5, 0x400000, v0
	v_and_or_b32 v1, v0, s4, v1
	v_cmp_ne_u32_e32 vcc, 0, v5
	v_cmp_ne_u32_e64 s[4:5], 0, v1
	s_and_b64 s[4:5], vcc, s[4:5]
	v_lshrrev_b32_e32 v4, 23, v0
	v_cndmask_b32_e64 v1, 0, 1, s[4:5]
	v_add_u32_e32 v4, v4, v1
; %bb.181:
	s_or_b64 exec, exec, s[6:7]
	s_mov_b64 s[6:7], -1
	s_mov_b64 s[4:5], 0
	global_store_byte v[2:3], v4, off
.LBB23_182:
	s_mov_b64 s[8:9], 0
.LBB23_183:
	s_and_b64 vcc, exec, s[8:9]
	s_cbranch_vccz .LBB23_186
; %bb.184:
	v_mov_b32_e32 v1, 29
	v_cmp_eq_u16_sdwa s[8:9], v21, v1 src0_sel:BYTE_0 src1_sel:DWORD
	s_mov_b64 s[4:5], -1
	s_and_b64 vcc, exec, s[8:9]
	s_cbranch_vccz .LBB23_186
; %bb.185:
	v_trunc_f32_e32 v1, v0
	v_mul_f32_e32 v4, 0x2f800000, v1
	v_floor_f32_e32 v4, v4
	v_fmac_f32_e32 v1, 0xcf800000, v4
	v_cvt_u32_f32_e32 v5, v4
	v_cvt_u32_f32_e32 v4, v1
	s_mov_b64 s[6:7], -1
	s_mov_b64 s[4:5], 0
	s_mov_b64 s[8:9], 0
	global_store_dwordx2 v[2:3], v[4:5], off
	s_branch .LBB23_187
.LBB23_186:
	s_mov_b64 s[8:9], 0
.LBB23_187:
	s_and_b64 vcc, exec, s[8:9]
	s_cbranch_vccz .LBB23_203
; %bb.188:
	v_mov_b32_e32 v1, 27
	v_cmp_lt_i16_sdwa s[8:9], v21, v1 src0_sel:BYTE_0 src1_sel:DWORD
	s_mov_b64 s[6:7], -1
	s_and_b64 vcc, exec, s[8:9]
	s_cbranch_vccnz .LBB23_194
; %bb.189:
	v_cmp_gt_i16_sdwa s[8:9], v21, v1 src0_sel:BYTE_0 src1_sel:DWORD
	v_cvt_u32_f32_e32 v1, v0
	s_and_b64 vcc, exec, s[8:9]
	s_cbranch_vccz .LBB23_191
; %bb.190:
	s_mov_b64 s[6:7], 0
	global_store_dword v[2:3], v1, off
.LBB23_191:
	s_andn2_b64 vcc, exec, s[6:7]
	s_cbranch_vccnz .LBB23_193
; %bb.192:
	global_store_short v[2:3], v1, off
.LBB23_193:
	s_mov_b64 s[6:7], 0
.LBB23_194:
	s_andn2_b64 vcc, exec, s[6:7]
	s_cbranch_vccnz .LBB23_202
; %bb.195:
	v_and_b32_e32 v1, 0x7fffffff, v0
	s_mov_b32 s6, 0x43800000
	v_cmp_gt_u32_e32 vcc, s6, v1
	v_mov_b32_e32 v4, 0x80
	s_and_saveexec_b64 s[6:7], vcc
	s_cbranch_execz .LBB23_201
; %bb.196:
	s_mov_b32 s8, 0x3bffffff
	v_cmp_lt_u32_e32 vcc, s8, v1
	s_mov_b64 s[8:9], 0
                                        ; implicit-def: $vgpr1
	s_and_saveexec_b64 s[10:11], vcc
	s_xor_b64 s[10:11], exec, s[10:11]
	s_cbranch_execz .LBB23_314
; %bb.197:
	v_bfe_u32 v1, v0, 20, 1
	s_mov_b32 s12, 0x487ffff
	v_add3_u32 v1, v0, v1, s12
	s_mov_b64 s[8:9], exec
	v_lshrrev_b32_e32 v1, 20, v1
	s_or_saveexec_b64 s[10:11], s[10:11]
                                        ; implicit-def: $sgpr12
	s_xor_b64 exec, exec, s[10:11]
	s_cbranch_execnz .LBB23_315
.LBB23_198:
	s_or_b64 exec, exec, s[10:11]
	v_mov_b32_e32 v4, s12
	s_and_saveexec_b64 s[10:11], s[8:9]
.LBB23_199:
	v_lshrrev_b32_e32 v4, 24, v0
	s_movk_i32 s8, 0x80
	v_and_or_b32 v4, v4, s8, v1
.LBB23_200:
	s_or_b64 exec, exec, s[10:11]
.LBB23_201:
	s_or_b64 exec, exec, s[6:7]
	global_store_byte v[2:3], v4, off
.LBB23_202:
	s_mov_b64 s[6:7], -1
.LBB23_203:
	s_mov_b64 s[8:9], 0
.LBB23_204:
	s_and_b64 vcc, exec, s[8:9]
	s_cbranch_vccz .LBB23_245
; %bb.205:
	v_mov_b32_e32 v1, 22
	v_cmp_gt_i16_sdwa s[10:11], v21, v1 src0_sel:BYTE_0 src1_sel:DWORD
	s_mov_b64 s[8:9], -1
	s_and_b64 vcc, exec, s[10:11]
	s_cbranch_vccz .LBB23_237
; %bb.206:
	v_mov_b32_e32 v1, 24
	v_cmp_lt_i16_sdwa s[8:9], v21, v1 src0_sel:BYTE_0 src1_sel:DWORD
	s_mov_b64 s[6:7], -1
	s_and_b64 vcc, exec, s[8:9]
	s_cbranch_vccnz .LBB23_226
; %bb.207:
	v_cmp_gt_i16_sdwa s[8:9], v21, v1 src0_sel:BYTE_0 src1_sel:DWORD
	s_and_b64 vcc, exec, s[8:9]
	s_cbranch_vccz .LBB23_215
; %bb.208:
	v_and_b32_e32 v1, 0x7fffffff, v0
	s_mov_b32 s6, 0x47800000
	v_cmp_gt_u32_e32 vcc, s6, v1
	v_mov_b32_e32 v4, 0x80
	s_and_saveexec_b64 s[6:7], vcc
	s_cbranch_execz .LBB23_214
; %bb.209:
	s_mov_b32 s8, 0x37ffffff
	v_cmp_lt_u32_e32 vcc, s8, v1
	s_mov_b64 s[8:9], 0
                                        ; implicit-def: $vgpr1
	s_and_saveexec_b64 s[10:11], vcc
	s_xor_b64 s[10:11], exec, s[10:11]
	s_cbranch_execz .LBB23_317
; %bb.210:
	v_bfe_u32 v1, v0, 21, 1
	s_mov_b32 s12, 0x88fffff
	v_add3_u32 v1, v0, v1, s12
	s_mov_b64 s[8:9], exec
	v_lshrrev_b32_e32 v1, 21, v1
	s_or_saveexec_b64 s[10:11], s[10:11]
                                        ; implicit-def: $sgpr12
	s_xor_b64 exec, exec, s[10:11]
	s_cbranch_execnz .LBB23_318
.LBB23_211:
	s_or_b64 exec, exec, s[10:11]
	v_mov_b32_e32 v4, s12
	s_and_saveexec_b64 s[10:11], s[8:9]
.LBB23_212:
	v_lshrrev_b32_e32 v4, 24, v0
	s_movk_i32 s8, 0x80
	v_and_or_b32 v4, v4, s8, v1
.LBB23_213:
	s_or_b64 exec, exec, s[10:11]
.LBB23_214:
	s_or_b64 exec, exec, s[6:7]
	s_mov_b64 s[6:7], 0
	global_store_byte v[2:3], v4, off
.LBB23_215:
	s_and_b64 vcc, exec, s[6:7]
	s_cbranch_vccz .LBB23_225
; %bb.216:
	v_and_b32_e32 v4, 0x7fffffff, v0
	s_mov_b32 s6, 0x43f00000
	v_cmp_gt_u32_e32 vcc, s6, v4
                                        ; implicit-def: $vgpr1
	s_and_saveexec_b64 s[6:7], vcc
	s_xor_b64 s[6:7], exec, s[6:7]
	s_cbranch_execz .LBB23_222
; %bb.217:
	s_mov_b32 s8, 0x3c7fffff
	v_cmp_lt_u32_e32 vcc, s8, v4
                                        ; implicit-def: $vgpr1
	s_and_saveexec_b64 s[8:9], vcc
	s_xor_b64 s[8:9], exec, s[8:9]
; %bb.218:
	v_bfe_u32 v1, v0, 20, 1
	s_mov_b32 s10, 0x407ffff
	v_add3_u32 v1, v0, v1, s10
	v_lshrrev_b32_e32 v4, 20, v1
	v_and_b32_e32 v1, 0xff00000, v1
	s_mov_b32 s10, 0x7f00000
	v_mov_b32_e32 v5, 0x7e
	v_cmp_ne_u32_e32 vcc, s10, v1
	v_cndmask_b32_e32 v1, v5, v4, vcc
; %bb.219:
	s_andn2_saveexec_b64 s[8:9], s[8:9]
; %bb.220:
	s_mov_b32 s10, 0x46800000
	v_add_f32_e64 v1, |v0|, s10
; %bb.221:
	s_or_b64 exec, exec, s[8:9]
                                        ; implicit-def: $vgpr4
.LBB23_222:
	s_andn2_saveexec_b64 s[6:7], s[6:7]
; %bb.223:
	s_mov_b32 s8, 0x7f800000
	v_mov_b32_e32 v1, 0x7e
	v_mov_b32_e32 v5, 0x7f
	v_cmp_lt_u32_e32 vcc, s8, v4
	v_cndmask_b32_e32 v1, v1, v5, vcc
; %bb.224:
	s_or_b64 exec, exec, s[6:7]
	v_lshrrev_b32_e32 v4, 24, v0
	s_movk_i32 s6, 0x80
	v_and_or_b32 v1, v4, s6, v1
	global_store_byte v[2:3], v1, off
.LBB23_225:
	s_mov_b64 s[6:7], 0
.LBB23_226:
	s_andn2_b64 vcc, exec, s[6:7]
	s_cbranch_vccnz .LBB23_236
; %bb.227:
	v_and_b32_e32 v4, 0x7fffffff, v0
	s_mov_b32 s6, 0x47800000
	v_cmp_gt_u32_e32 vcc, s6, v4
                                        ; implicit-def: $vgpr1
	s_and_saveexec_b64 s[6:7], vcc
	s_xor_b64 s[6:7], exec, s[6:7]
	s_cbranch_execz .LBB23_233
; %bb.228:
	s_mov_b32 s8, 0x387fffff
	v_cmp_lt_u32_e32 vcc, s8, v4
                                        ; implicit-def: $vgpr1
	s_and_saveexec_b64 s[8:9], vcc
	s_xor_b64 s[8:9], exec, s[8:9]
; %bb.229:
	v_bfe_u32 v1, v0, 21, 1
	s_mov_b32 s10, 0x80fffff
	v_add3_u32 v1, v0, v1, s10
	v_lshrrev_b32_e32 v1, 21, v1
; %bb.230:
	s_andn2_saveexec_b64 s[8:9], s[8:9]
; %bb.231:
	s_mov_b32 s10, 0x43000000
	v_add_f32_e64 v1, |v0|, s10
; %bb.232:
	s_or_b64 exec, exec, s[8:9]
                                        ; implicit-def: $vgpr4
.LBB23_233:
	s_andn2_saveexec_b64 s[6:7], s[6:7]
; %bb.234:
	s_mov_b32 s8, 0x7f800000
	v_mov_b32_e32 v1, 0x7c
	v_mov_b32_e32 v5, 0x7f
	v_cmp_lt_u32_e32 vcc, s8, v4
	v_cndmask_b32_e32 v1, v1, v5, vcc
; %bb.235:
	s_or_b64 exec, exec, s[6:7]
	v_lshrrev_b32_e32 v4, 24, v0
	s_movk_i32 s6, 0x80
	v_and_or_b32 v1, v4, s6, v1
	global_store_byte v[2:3], v1, off
.LBB23_236:
	s_mov_b64 s[8:9], 0
	s_mov_b64 s[6:7], -1
.LBB23_237:
	s_andn2_b64 vcc, exec, s[8:9]
	s_cbranch_vccnz .LBB23_245
; %bb.238:
	v_mov_b32_e32 v1, 14
	v_cmp_gt_i16_sdwa s[10:11], v21, v1 src0_sel:BYTE_0 src1_sel:DWORD
	s_mov_b64 s[8:9], -1
	s_and_b64 vcc, exec, s[10:11]
	s_cbranch_vccz .LBB23_242
; %bb.239:
	v_mov_b32_e32 v1, 15
	v_cmp_eq_u16_sdwa s[8:9], v21, v1 src0_sel:BYTE_0 src1_sel:DWORD
	s_mov_b64 s[4:5], -1
	s_and_b64 vcc, exec, s[8:9]
	s_cbranch_vccz .LBB23_241
; %bb.240:
	v_bfe_u32 v1, v0, 16, 1
	s_movk_i32 s4, 0x7fff
	v_add3_u32 v1, v0, v1, s4
	v_lshrrev_b32_e32 v1, 16, v1
	v_mov_b32_e32 v4, 0x7fc0
	v_cmp_o_f32_e32 vcc, v0, v0
	v_cndmask_b32_e32 v1, v4, v1, vcc
	global_store_short v[2:3], v1, off
	s_mov_b64 s[6:7], -1
	s_mov_b64 s[4:5], 0
.LBB23_241:
	s_mov_b64 s[8:9], 0
.LBB23_242:
	s_and_b64 vcc, exec, s[8:9]
	s_cbranch_vccz .LBB23_245
; %bb.243:
	v_mov_b32_e32 v1, 11
	v_cmp_eq_u16_sdwa s[8:9], v21, v1 src0_sel:BYTE_0 src1_sel:DWORD
	s_mov_b64 s[4:5], -1
	s_and_b64 vcc, exec, s[8:9]
	s_cbranch_vccz .LBB23_245
; %bb.244:
	v_cmp_neq_f32_e32 vcc, 0, v0
	v_cndmask_b32_e64 v1, 0, 1, vcc
	s_mov_b64 s[6:7], -1
	s_mov_b64 s[4:5], 0
	global_store_byte v[2:3], v1, off
.LBB23_245:
	s_branch .LBB23_167
.LBB23_246:
	v_mov_b32_e32 v1, 5
	v_cmp_lt_i16_sdwa s[8:9], v21, v1 src0_sel:BYTE_0 src1_sel:DWORD
	s_mov_b64 s[6:7], -1
	s_and_b64 vcc, exec, s[8:9]
	s_cbranch_vccnz .LBB23_267
; %bb.247:
	v_mov_b32_e32 v1, 8
	v_cmp_lt_i16_sdwa s[8:9], v21, v1 src0_sel:BYTE_0 src1_sel:DWORD
	s_and_b64 vcc, exec, s[8:9]
	s_cbranch_vccnz .LBB23_257
; %bb.248:
	v_mov_b32_e32 v1, 9
	v_cmp_lt_i16_sdwa s[8:9], v21, v1 src0_sel:BYTE_0 src1_sel:DWORD
	s_and_b64 vcc, exec, s[8:9]
	s_cbranch_vccnz .LBB23_254
; %bb.249:
	v_cmp_gt_i16_sdwa s[8:9], v21, v1 src0_sel:BYTE_0 src1_sel:DWORD
	s_and_b64 vcc, exec, s[8:9]
	s_cbranch_vccz .LBB23_251
; %bb.250:
	v_mov_b32_e32 v6, 0
	v_cvt_f64_f32_e32 v[4:5], v0
	v_mov_b32_e32 v7, v6
	s_mov_b64 s[6:7], 0
	global_store_dwordx4 v[2:3], v[4:7], off
.LBB23_251:
	s_andn2_b64 vcc, exec, s[6:7]
	s_cbranch_vccnz .LBB23_253
; %bb.252:
	v_mov_b32_e32 v1, 0
	global_store_dwordx2 v[2:3], v[0:1], off
.LBB23_253:
	s_mov_b64 s[6:7], 0
.LBB23_254:
	s_andn2_b64 vcc, exec, s[6:7]
	s_cbranch_vccnz .LBB23_256
; %bb.255:
	v_cvt_f16_f32_e32 v1, v0
	global_store_dword v[2:3], v1, off
.LBB23_256:
	s_mov_b64 s[6:7], 0
.LBB23_257:
	s_andn2_b64 vcc, exec, s[6:7]
	s_cbranch_vccnz .LBB23_266
; %bb.258:
	v_mov_b32_e32 v1, 6
	v_cmp_lt_i16_sdwa s[8:9], v21, v1 src0_sel:BYTE_0 src1_sel:DWORD
	s_mov_b64 s[6:7], -1
	s_and_b64 vcc, exec, s[8:9]
	s_cbranch_vccnz .LBB23_264
; %bb.259:
	v_cmp_gt_i16_sdwa s[8:9], v21, v1 src0_sel:BYTE_0 src1_sel:DWORD
	s_and_b64 vcc, exec, s[8:9]
	s_cbranch_vccz .LBB23_261
; %bb.260:
	v_cvt_f64_f32_e32 v[4:5], v0
	s_mov_b64 s[6:7], 0
	global_store_dwordx2 v[2:3], v[4:5], off
.LBB23_261:
	s_andn2_b64 vcc, exec, s[6:7]
	s_cbranch_vccnz .LBB23_263
; %bb.262:
	global_store_dword v[2:3], v0, off
.LBB23_263:
	s_mov_b64 s[6:7], 0
.LBB23_264:
	s_andn2_b64 vcc, exec, s[6:7]
	s_cbranch_vccnz .LBB23_266
; %bb.265:
	v_cvt_f16_f32_e32 v1, v0
	global_store_short v[2:3], v1, off
.LBB23_266:
	s_mov_b64 s[6:7], 0
.LBB23_267:
	s_andn2_b64 vcc, exec, s[6:7]
	s_cbranch_vccnz .LBB23_283
; %bb.268:
	v_mov_b32_e32 v1, 2
	v_cmp_lt_i16_sdwa s[8:9], v21, v1 src0_sel:BYTE_0 src1_sel:DWORD
	s_mov_b64 s[6:7], -1
	s_and_b64 vcc, exec, s[8:9]
	s_cbranch_vccnz .LBB23_278
; %bb.269:
	v_mov_b32_e32 v1, 3
	v_cmp_lt_i16_sdwa s[8:9], v21, v1 src0_sel:BYTE_0 src1_sel:DWORD
	s_and_b64 vcc, exec, s[8:9]
	s_cbranch_vccnz .LBB23_275
; %bb.270:
	v_cmp_gt_i16_sdwa s[8:9], v21, v1 src0_sel:BYTE_0 src1_sel:DWORD
	s_and_b64 vcc, exec, s[8:9]
	s_cbranch_vccz .LBB23_272
; %bb.271:
	v_trunc_f32_e32 v1, v0
	s_mov_b32 s6, 0x2f800000
	v_mul_f32_e64 v4, |v1|, s6
	v_floor_f32_e32 v4, v4
	s_mov_b32 s6, 0xcf800000
	v_cvt_u32_f32_e32 v5, v4
	v_fma_f32 v4, v4, s6, |v1|
	v_cvt_u32_f32_e32 v4, v4
	v_ashrrev_i32_e32 v1, 31, v1
	v_xor_b32_e32 v5, v5, v1
	s_mov_b64 s[6:7], 0
	v_xor_b32_e32 v4, v4, v1
	v_sub_co_u32_e32 v4, vcc, v4, v1
	v_subb_co_u32_e32 v5, vcc, v5, v1, vcc
	global_store_dwordx2 v[2:3], v[4:5], off
.LBB23_272:
	s_andn2_b64 vcc, exec, s[6:7]
	s_cbranch_vccnz .LBB23_274
; %bb.273:
	v_cvt_i32_f32_e32 v1, v0
	global_store_dword v[2:3], v1, off
.LBB23_274:
	s_mov_b64 s[6:7], 0
.LBB23_275:
	s_andn2_b64 vcc, exec, s[6:7]
	s_cbranch_vccnz .LBB23_277
; %bb.276:
	v_cvt_i32_f32_e32 v1, v0
	global_store_short v[2:3], v1, off
.LBB23_277:
	s_mov_b64 s[6:7], 0
.LBB23_278:
	s_andn2_b64 vcc, exec, s[6:7]
	s_cbranch_vccnz .LBB23_283
; %bb.279:
	v_mov_b32_e32 v1, 0
	v_cmp_gt_i16_sdwa s[8:9], v21, v1 src0_sel:BYTE_0 src1_sel:DWORD
	s_mov_b64 s[6:7], -1
	s_and_b64 vcc, exec, s[8:9]
	s_cbranch_vccz .LBB23_281
; %bb.280:
	v_cvt_i32_f32_e32 v1, v0
	s_mov_b64 s[6:7], 0
	global_store_byte v[2:3], v1, off
.LBB23_281:
	s_andn2_b64 vcc, exec, s[6:7]
	s_cbranch_vccnz .LBB23_283
; %bb.282:
	v_trunc_f32_e32 v0, v0
	s_mov_b32 s6, 0x2f800000
	v_mul_f32_e64 v1, |v0|, s6
	v_floor_f32_e32 v1, v1
	s_mov_b32 s6, 0xcf800000
	v_fma_f32 v1, v1, s6, |v0|
	v_cvt_u32_f32_e32 v1, v1
	v_ashrrev_i32_e32 v0, 31, v0
	v_xor_b32_e32 v1, v1, v0
	v_sub_u32_e32 v0, v1, v0
	global_store_byte v[2:3], v0, off
.LBB23_283:
	s_branch .LBB23_168
.LBB23_284:
	s_mov_b64 s[6:7], 0
                                        ; implicit-def: $vgpr24
.LBB23_285:
	s_andn2_b64 s[8:9], s[62:63], exec
	s_and_b64 s[4:5], s[4:5], exec
	s_or_b64 s[66:67], s[8:9], s[4:5]
	s_orn2_b64 s[8:9], s[6:7], exec
.LBB23_286:
	s_or_b64 exec, exec, s[68:69]
	s_mov_b64 s[4:5], 0
	s_mov_b64 s[6:7], 0
                                        ; implicit-def: $vgpr4
                                        ; implicit-def: $vgpr2_vgpr3
                                        ; implicit-def: $vgpr0
	s_and_saveexec_b64 s[68:69], s[8:9]
	s_cbranch_execz .LBB23_529
; %bb.287:
	v_cmp_gt_i32_e32 vcc, s74, v24
	s_mov_b64 s[6:7], -1
	s_mov_b64 s[72:73], s[66:67]
	s_and_saveexec_b64 s[70:71], vcc
	s_cbranch_execz .LBB23_432
; %bb.288:
	s_andn2_b64 vcc, exec, s[50:51]
	s_cbranch_vccnz .LBB23_294
; %bb.289:
	s_mov_b32 s24, 0
	s_andn2_b64 vcc, exec, s[60:61]
	v_mov_b32_e32 v2, 0
	v_mov_b32_e32 v22, 0
	s_cbranch_vccnz .LBB23_300
; %bb.290:
	s_add_i32 s72, s77, 1
	s_cmp_eq_u32 s76, 2
	s_cbranch_scc1 .LBB23_295
; %bb.291:
	s_and_b32 s24, s72, 28
	s_mov_b32 s25, 0
	v_mov_b32_e32 v22, 0
	s_mov_b64 s[26:27], s[34:35]
	s_mov_b64 s[30:31], s[58:59]
	v_mov_b32_e32 v0, v24
	v_mov_b32_e32 v2, 0
.LBB23_292:                             ; =>This Inner Loop Header: Depth=1
	s_load_dwordx8 s[12:19], s[26:27], 0x4
	s_load_dwordx4 s[20:23], s[26:27], 0x24
	s_load_dwordx8 s[4:11], s[30:31], 0x0
	s_add_u32 s26, s26, 48
	s_addc_u32 s27, s27, 0
	s_waitcnt lgkmcnt(0)
	v_mul_hi_u32 v1, s13, v0
	v_add_u32_e32 v1, v0, v1
	v_lshrrev_b32_e32 v1, s14, v1
	v_mul_lo_u32 v3, v1, s12
	v_mul_hi_u32 v4, s16, v1
	v_sub_u32_e32 v0, v0, v3
	v_add_u32_e32 v3, v1, v4
	v_lshrrev_b32_e32 v3, s17, v3
	v_mul_lo_u32 v5, v3, s15
	v_mul_hi_u32 v6, s19, v3
	v_sub_u32_e32 v1, v1, v5
	v_add_u32_e32 v5, v3, v6
	v_mul_lo_u32 v4, v0, s5
	v_mul_lo_u32 v0, v0, s4
	;; [unrolled: 1-line block ×4, first 2 shown]
	v_lshrrev_b32_e32 v5, s20, v5
	v_add3_u32 v1, v0, v22, v1
	v_add3_u32 v2, v4, v2, v6
	v_mul_lo_u32 v0, v5, s18
	v_mul_hi_u32 v4, s22, v5
	v_sub_u32_e32 v0, v3, v0
	v_add_u32_e32 v3, v5, v4
	v_mul_lo_u32 v4, v0, s8
	v_mul_lo_u32 v6, v0, s9
	v_lshrrev_b32_e32 v0, s23, v3
	s_add_i32 s25, s25, 4
	v_mul_lo_u32 v3, v0, s21
	s_add_u32 s30, s30, 32
	v_sub_u32_e32 v3, v5, v3
	s_addc_u32 s31, s31, 0
	v_mul_lo_u32 v5, v3, s10
	v_mul_lo_u32 v3, v3, s11
	s_cmp_eq_u32 s24, s25
	v_add3_u32 v2, v6, v2, v3
	v_add3_u32 v22, v4, v1, v5
	s_cbranch_scc0 .LBB23_292
; %bb.293:
	v_mov_b32_e32 v23, v2
	s_branch .LBB23_296
.LBB23_294:
	s_mov_b64 s[4:5], -1
                                        ; implicit-def: $vgpr2
                                        ; implicit-def: $vgpr22
	s_branch .LBB23_301
.LBB23_295:
	s_mov_b32 s25, s24
	v_pk_mov_b32 v[22:23], s[24:25], s[24:25] op_sel:[0,1]
                                        ; implicit-def: $vgpr2
	v_mov_b32_e32 v0, v24
.LBB23_296:
	s_and_b32 s8, s72, 3
	s_cmp_eq_u32 s8, 0
	s_cbranch_scc1 .LBB23_300
; %bb.297:
	s_lshl_b32 s4, s24, 3
	s_add_u32 s4, s4, s34
	s_addc_u32 s5, s35, 0
	s_add_u32 s4, s4, 0xc4
	s_addc_u32 s5, s5, 0
	s_mul_i32 s6, s24, 12
	s_add_u32 s6, s34, s6
	s_addc_u32 s7, s35, 0
.LBB23_298:                             ; =>This Inner Loop Header: Depth=1
	s_load_dwordx2 s[10:11], s[6:7], 0x4
	s_load_dword s9, s[6:7], 0xc
	s_load_dwordx2 s[12:13], s[4:5], 0x0
	s_add_u32 s6, s6, 12
	s_addc_u32 s7, s7, 0
	s_waitcnt lgkmcnt(0)
	v_mul_hi_u32 v1, s11, v0
	v_add_u32_e32 v1, v0, v1
	v_lshrrev_b32_e32 v1, s9, v1
	v_mul_lo_u32 v3, v1, s10
	v_mov_b32_e32 v2, v23
	s_add_u32 s4, s4, 8
	v_sub_u32_e32 v4, v0, v3
	s_addc_u32 s5, s5, 0
	s_add_i32 s8, s8, -1
	v_mad_u64_u32 v[2:3], s[10:11], v4, s13, v[2:3]
	v_mad_u64_u32 v[22:23], s[10:11], v4, s12, v[22:23]
	s_cmp_lg_u32 s8, 0
	v_mov_b32_e32 v0, v1
	v_mov_b32_e32 v23, v2
	s_cbranch_scc1 .LBB23_298
; %bb.299:
	v_mov_b32_e32 v2, v23
.LBB23_300:
	s_mov_b64 s[4:5], 0
.LBB23_301:
	s_andn2_b64 vcc, exec, s[4:5]
	s_cbranch_vccnz .LBB23_304
; %bb.302:
	s_waitcnt lgkmcnt(0)
	v_mul_hi_u32 v0, s45, v24
	v_add_u32_e32 v0, v24, v0
	v_lshrrev_b32_e32 v0, s46, v0
	v_mul_lo_u32 v1, v0, s44
	v_sub_u32_e32 v1, v24, v1
	v_mul_lo_u32 v2, v1, s41
	s_andn2_b64 vcc, exec, s[56:57]
	v_mul_lo_u32 v22, v1, s40
	s_cbranch_vccnz .LBB23_304
; %bb.303:
	v_mul_hi_u32 v1, s54, v0
	v_add_u32_e32 v1, v0, v1
	v_lshrrev_b32_e32 v1, s55, v1
	v_mul_lo_u32 v1, v1, s47
	v_sub_u32_e32 v0, v0, v1
	v_mad_u64_u32 v[22:23], s[4:5], v0, s42, v[22:23]
	v_mad_u64_u32 v[2:3], s[4:5], v0, s43, v[2:3]
.LBB23_304:
	s_waitcnt lgkmcnt(0)
	v_mov_b32_e32 v0, s38
	v_mov_b32_e32 v1, s39
	;; [unrolled: 1-line block ×3, first 2 shown]
	s_getpc_b64 s[4:5]
	s_add_u32 s4, s4, _ZN2at6native6invokeIZZZNS0_12_GLOBAL__N_130modified_bessel_k0_kernel_cudaERNS_18TensorIteratorBaseEENKUlvE_clEvENKUlvE0_clEvEUlfE_j15function_traitsIS7_EEENT1_11result_typeERKT_PrKPcPKT0_PKN3c1010ScalarTypeEi@rel32@lo+4
	s_addc_u32 s5, s5, _ZN2at6native6invokeIZZZNS0_12_GLOBAL__N_130modified_bessel_k0_kernel_cudaERNS_18TensorIteratorBaseEENKUlvE_clEvENKUlvE0_clEvEUlfE_j15function_traitsIS7_EEENT1_11result_typeERKT_PrKPcPKT0_PKN3c1010ScalarTypeEi@rel32@hi+12
	s_swappc_b64 s[30:31], s[4:5]
	v_mov_b32_e32 v1, s37
	v_add_co_u32_e32 v2, vcc, s36, v22
	v_addc_co_u32_e32 v3, vcc, 0, v1, vcc
	v_mov_b32_e32 v1, 11
	v_cmp_lt_i16_sdwa s[4:5], v21, v1 src0_sel:BYTE_0 src1_sel:DWORD
	s_and_b64 vcc, exec, s[4:5]
	s_cbranch_vccnz .LBB23_311
; %bb.305:
	v_mov_b32_e32 v1, 25
	v_cmp_gt_i16_sdwa s[4:5], v21, v1 src0_sel:BYTE_0 src1_sel:DWORD
	s_and_b64 vcc, exec, s[4:5]
	s_cbranch_vccz .LBB23_312
; %bb.306:
	v_mov_b32_e32 v1, 28
	v_cmp_gt_i16_sdwa s[4:5], v21, v1 src0_sel:BYTE_0 src1_sel:DWORD
	s_and_b64 vcc, exec, s[4:5]
	s_cbranch_vccz .LBB23_313
; %bb.307:
	v_mov_b32_e32 v1, 43
	v_cmp_gt_i16_sdwa s[4:5], v21, v1 src0_sel:BYTE_0 src1_sel:DWORD
	s_and_b64 vcc, exec, s[4:5]
	s_cbranch_vccz .LBB23_316
; %bb.308:
	v_mov_b32_e32 v1, 45
	v_cmp_gt_i16_sdwa s[4:5], v21, v1 src0_sel:BYTE_0 src1_sel:DWORD
	s_and_b64 vcc, exec, s[4:5]
	s_cbranch_vccz .LBB23_319
; %bb.309:
	v_mov_b32_e32 v1, 46
	v_cmp_eq_u16_sdwa s[6:7], v21, v1 src0_sel:BYTE_0 src1_sel:DWORD
	s_mov_b64 s[8:9], 0
	s_mov_b64 s[4:5], -1
	s_and_b64 vcc, exec, s[6:7]
	s_mov_b64 s[6:7], 0
	s_cbranch_vccz .LBB23_320
; %bb.310:
	v_bfe_u32 v1, v0, 16, 1
	s_movk_i32 s4, 0x7fff
	v_add3_u32 v1, v0, v1, s4
	v_lshrrev_b32_e32 v1, 16, v1
	v_mov_b32_e32 v4, 0x7fc0
	v_cmp_o_f32_e32 vcc, v0, v0
	v_cndmask_b32_e32 v1, v4, v1, vcc
	global_store_dword v[2:3], v1, off
	s_mov_b64 s[6:7], -1
	s_mov_b64 s[4:5], 0
	s_branch .LBB23_320
.LBB23_311:
	s_mov_b64 s[8:9], -1
	s_mov_b64 s[6:7], 0
	s_mov_b64 s[4:5], s[66:67]
	s_branch .LBB23_389
.LBB23_312:
	s_mov_b64 s[8:9], -1
	s_mov_b64 s[6:7], 0
	s_mov_b64 s[4:5], s[66:67]
	s_branch .LBB23_347
.LBB23_313:
	s_mov_b64 s[8:9], -1
	s_mov_b64 s[6:7], 0
	s_mov_b64 s[4:5], s[66:67]
	s_branch .LBB23_330
.LBB23_314:
	s_or_saveexec_b64 s[10:11], s[10:11]
                                        ; implicit-def: $sgpr12
	s_xor_b64 exec, exec, s[10:11]
	s_cbranch_execz .LBB23_198
.LBB23_315:
	s_mov_b32 s12, 0x46000000
	v_add_f32_e64 v1, |v0|, s12
	v_and_b32_e32 v1, 0xff, v1
	v_cmp_ne_u32_e32 vcc, 0, v1
	s_andn2_b64 s[8:9], s[8:9], exec
	s_and_b64 s[14:15], vcc, exec
	s_mov_b32 s12, 0
	s_or_b64 s[8:9], s[8:9], s[14:15]
	s_or_b64 exec, exec, s[10:11]
	v_mov_b32_e32 v4, s12
	s_and_saveexec_b64 s[10:11], s[8:9]
	s_cbranch_execnz .LBB23_199
	s_branch .LBB23_200
.LBB23_316:
	s_mov_b64 s[8:9], -1
	s_mov_b64 s[6:7], 0
	s_mov_b64 s[4:5], s[66:67]
	s_branch .LBB23_326
.LBB23_317:
	s_or_saveexec_b64 s[10:11], s[10:11]
                                        ; implicit-def: $sgpr12
	s_xor_b64 exec, exec, s[10:11]
	s_cbranch_execz .LBB23_211
.LBB23_318:
	s_mov_b32 s12, 0x42800000
	v_add_f32_e64 v1, |v0|, s12
	v_and_b32_e32 v1, 0xff, v1
	v_cmp_ne_u32_e32 vcc, 0, v1
	s_andn2_b64 s[8:9], s[8:9], exec
	s_and_b64 s[14:15], vcc, exec
	s_mov_b32 s12, 0
	s_or_b64 s[8:9], s[8:9], s[14:15]
	s_or_b64 exec, exec, s[10:11]
	v_mov_b32_e32 v4, s12
	s_and_saveexec_b64 s[10:11], s[8:9]
	s_cbranch_execnz .LBB23_212
	s_branch .LBB23_213
.LBB23_319:
	s_mov_b64 s[8:9], -1
	s_mov_b64 s[6:7], 0
	s_mov_b64 s[4:5], s[66:67]
.LBB23_320:
	s_and_b64 vcc, exec, s[8:9]
	s_cbranch_vccz .LBB23_325
; %bb.321:
	v_mov_b32_e32 v1, 44
	v_cmp_eq_u16_sdwa s[8:9], v21, v1 src0_sel:BYTE_0 src1_sel:DWORD
	s_mov_b64 s[4:5], -1
	s_and_b64 vcc, exec, s[8:9]
	s_cbranch_vccz .LBB23_325
; %bb.322:
	v_bfe_u32 v1, v0, 23, 8
	s_movk_i32 s4, 0xff
	v_cmp_ne_u32_e32 vcc, s4, v1
	v_mov_b32_e32 v4, 0xff
	s_and_saveexec_b64 s[6:7], vcc
; %bb.323:
	s_mov_b32 s4, 0x3fffff
	v_and_b32_e32 v5, 0x400000, v0
	v_and_or_b32 v1, v0, s4, v1
	v_cmp_ne_u32_e32 vcc, 0, v5
	v_cmp_ne_u32_e64 s[4:5], 0, v1
	s_and_b64 s[4:5], vcc, s[4:5]
	v_lshrrev_b32_e32 v4, 23, v0
	v_cndmask_b32_e64 v1, 0, 1, s[4:5]
	v_add_u32_e32 v4, v4, v1
; %bb.324:
	s_or_b64 exec, exec, s[6:7]
	s_mov_b64 s[6:7], -1
	s_mov_b64 s[4:5], 0
	global_store_byte v[2:3], v4, off
.LBB23_325:
	s_mov_b64 s[8:9], 0
.LBB23_326:
	s_and_b64 vcc, exec, s[8:9]
	s_cbranch_vccz .LBB23_329
; %bb.327:
	v_mov_b32_e32 v1, 29
	v_cmp_eq_u16_sdwa s[8:9], v21, v1 src0_sel:BYTE_0 src1_sel:DWORD
	s_mov_b64 s[4:5], -1
	s_and_b64 vcc, exec, s[8:9]
	s_cbranch_vccz .LBB23_329
; %bb.328:
	v_trunc_f32_e32 v1, v0
	v_mul_f32_e32 v4, 0x2f800000, v1
	v_floor_f32_e32 v4, v4
	v_fmac_f32_e32 v1, 0xcf800000, v4
	v_cvt_u32_f32_e32 v5, v4
	v_cvt_u32_f32_e32 v4, v1
	s_mov_b64 s[6:7], -1
	s_mov_b64 s[4:5], 0
	s_mov_b64 s[8:9], 0
	global_store_dwordx2 v[2:3], v[4:5], off
	s_branch .LBB23_330
.LBB23_329:
	s_mov_b64 s[8:9], 0
.LBB23_330:
	s_and_b64 vcc, exec, s[8:9]
	s_cbranch_vccz .LBB23_346
; %bb.331:
	v_mov_b32_e32 v1, 27
	v_cmp_lt_i16_sdwa s[8:9], v21, v1 src0_sel:BYTE_0 src1_sel:DWORD
	s_mov_b64 s[6:7], -1
	s_and_b64 vcc, exec, s[8:9]
	s_cbranch_vccnz .LBB23_337
; %bb.332:
	v_cmp_gt_i16_sdwa s[8:9], v21, v1 src0_sel:BYTE_0 src1_sel:DWORD
	v_cvt_u32_f32_e32 v1, v0
	s_and_b64 vcc, exec, s[8:9]
	s_cbranch_vccz .LBB23_334
; %bb.333:
	s_mov_b64 s[6:7], 0
	global_store_dword v[2:3], v1, off
.LBB23_334:
	s_andn2_b64 vcc, exec, s[6:7]
	s_cbranch_vccnz .LBB23_336
; %bb.335:
	global_store_short v[2:3], v1, off
.LBB23_336:
	s_mov_b64 s[6:7], 0
.LBB23_337:
	s_andn2_b64 vcc, exec, s[6:7]
	s_cbranch_vccnz .LBB23_345
; %bb.338:
	v_and_b32_e32 v1, 0x7fffffff, v0
	s_mov_b32 s6, 0x43800000
	v_cmp_gt_u32_e32 vcc, s6, v1
	v_mov_b32_e32 v4, 0x80
	s_and_saveexec_b64 s[6:7], vcc
	s_cbranch_execz .LBB23_344
; %bb.339:
	s_mov_b32 s8, 0x3bffffff
	v_cmp_lt_u32_e32 vcc, s8, v1
	s_mov_b64 s[8:9], 0
                                        ; implicit-def: $vgpr1
	s_and_saveexec_b64 s[10:11], vcc
	s_xor_b64 s[10:11], exec, s[10:11]
	s_cbranch_execz .LBB23_1124
; %bb.340:
	v_bfe_u32 v1, v0, 20, 1
	s_mov_b32 s12, 0x487ffff
	v_add3_u32 v1, v0, v1, s12
	s_mov_b64 s[8:9], exec
	v_lshrrev_b32_e32 v1, 20, v1
	s_or_saveexec_b64 s[10:11], s[10:11]
                                        ; implicit-def: $sgpr12
	s_xor_b64 exec, exec, s[10:11]
	s_cbranch_execnz .LBB23_1125
.LBB23_341:
	s_or_b64 exec, exec, s[10:11]
	v_mov_b32_e32 v4, s12
	s_and_saveexec_b64 s[10:11], s[8:9]
.LBB23_342:
	v_lshrrev_b32_e32 v4, 24, v0
	s_movk_i32 s8, 0x80
	v_and_or_b32 v4, v4, s8, v1
.LBB23_343:
	s_or_b64 exec, exec, s[10:11]
.LBB23_344:
	s_or_b64 exec, exec, s[6:7]
	global_store_byte v[2:3], v4, off
.LBB23_345:
	s_mov_b64 s[6:7], -1
.LBB23_346:
	s_mov_b64 s[8:9], 0
.LBB23_347:
	s_and_b64 vcc, exec, s[8:9]
	s_cbranch_vccz .LBB23_388
; %bb.348:
	v_mov_b32_e32 v1, 22
	v_cmp_gt_i16_sdwa s[10:11], v21, v1 src0_sel:BYTE_0 src1_sel:DWORD
	s_mov_b64 s[8:9], -1
	s_and_b64 vcc, exec, s[10:11]
	s_cbranch_vccz .LBB23_380
; %bb.349:
	v_mov_b32_e32 v1, 24
	v_cmp_lt_i16_sdwa s[8:9], v21, v1 src0_sel:BYTE_0 src1_sel:DWORD
	s_mov_b64 s[6:7], -1
	s_and_b64 vcc, exec, s[8:9]
	s_cbranch_vccnz .LBB23_369
; %bb.350:
	v_cmp_gt_i16_sdwa s[8:9], v21, v1 src0_sel:BYTE_0 src1_sel:DWORD
	s_and_b64 vcc, exec, s[8:9]
	s_cbranch_vccz .LBB23_358
; %bb.351:
	v_and_b32_e32 v1, 0x7fffffff, v0
	s_mov_b32 s6, 0x47800000
	v_cmp_gt_u32_e32 vcc, s6, v1
	v_mov_b32_e32 v4, 0x80
	s_and_saveexec_b64 s[6:7], vcc
	s_cbranch_execz .LBB23_357
; %bb.352:
	s_mov_b32 s8, 0x37ffffff
	v_cmp_lt_u32_e32 vcc, s8, v1
	s_mov_b64 s[8:9], 0
                                        ; implicit-def: $vgpr1
	s_and_saveexec_b64 s[10:11], vcc
	s_xor_b64 s[10:11], exec, s[10:11]
	s_cbranch_execz .LBB23_1131
; %bb.353:
	v_bfe_u32 v1, v0, 21, 1
	s_mov_b32 s12, 0x88fffff
	v_add3_u32 v1, v0, v1, s12
	s_mov_b64 s[8:9], exec
	v_lshrrev_b32_e32 v1, 21, v1
	s_or_saveexec_b64 s[10:11], s[10:11]
                                        ; implicit-def: $sgpr12
	s_xor_b64 exec, exec, s[10:11]
	s_cbranch_execnz .LBB23_1132
.LBB23_354:
	s_or_b64 exec, exec, s[10:11]
	v_mov_b32_e32 v4, s12
	s_and_saveexec_b64 s[10:11], s[8:9]
.LBB23_355:
	v_lshrrev_b32_e32 v4, 24, v0
	s_movk_i32 s8, 0x80
	v_and_or_b32 v4, v4, s8, v1
.LBB23_356:
	s_or_b64 exec, exec, s[10:11]
.LBB23_357:
	s_or_b64 exec, exec, s[6:7]
	s_mov_b64 s[6:7], 0
	global_store_byte v[2:3], v4, off
.LBB23_358:
	s_and_b64 vcc, exec, s[6:7]
	s_cbranch_vccz .LBB23_368
; %bb.359:
	v_and_b32_e32 v4, 0x7fffffff, v0
	s_mov_b32 s6, 0x43f00000
	v_cmp_gt_u32_e32 vcc, s6, v4
                                        ; implicit-def: $vgpr1
	s_and_saveexec_b64 s[6:7], vcc
	s_xor_b64 s[6:7], exec, s[6:7]
	s_cbranch_execz .LBB23_365
; %bb.360:
	s_mov_b32 s8, 0x3c7fffff
	v_cmp_lt_u32_e32 vcc, s8, v4
                                        ; implicit-def: $vgpr1
	s_and_saveexec_b64 s[8:9], vcc
	s_xor_b64 s[8:9], exec, s[8:9]
; %bb.361:
	v_bfe_u32 v1, v0, 20, 1
	s_mov_b32 s10, 0x407ffff
	v_add3_u32 v1, v0, v1, s10
	v_lshrrev_b32_e32 v4, 20, v1
	v_and_b32_e32 v1, 0xff00000, v1
	s_mov_b32 s10, 0x7f00000
	v_mov_b32_e32 v5, 0x7e
	v_cmp_ne_u32_e32 vcc, s10, v1
	v_cndmask_b32_e32 v1, v5, v4, vcc
; %bb.362:
	s_andn2_saveexec_b64 s[8:9], s[8:9]
; %bb.363:
	s_mov_b32 s10, 0x46800000
	v_add_f32_e64 v1, |v0|, s10
; %bb.364:
	s_or_b64 exec, exec, s[8:9]
                                        ; implicit-def: $vgpr4
.LBB23_365:
	s_andn2_saveexec_b64 s[6:7], s[6:7]
; %bb.366:
	s_mov_b32 s8, 0x7f800000
	v_mov_b32_e32 v1, 0x7e
	v_mov_b32_e32 v5, 0x7f
	v_cmp_lt_u32_e32 vcc, s8, v4
	v_cndmask_b32_e32 v1, v1, v5, vcc
; %bb.367:
	s_or_b64 exec, exec, s[6:7]
	v_lshrrev_b32_e32 v4, 24, v0
	s_movk_i32 s6, 0x80
	v_and_or_b32 v1, v4, s6, v1
	global_store_byte v[2:3], v1, off
.LBB23_368:
	s_mov_b64 s[6:7], 0
.LBB23_369:
	s_andn2_b64 vcc, exec, s[6:7]
	s_cbranch_vccnz .LBB23_379
; %bb.370:
	v_and_b32_e32 v4, 0x7fffffff, v0
	s_mov_b32 s6, 0x47800000
	v_cmp_gt_u32_e32 vcc, s6, v4
                                        ; implicit-def: $vgpr1
	s_and_saveexec_b64 s[6:7], vcc
	s_xor_b64 s[6:7], exec, s[6:7]
	s_cbranch_execz .LBB23_376
; %bb.371:
	s_mov_b32 s8, 0x387fffff
	v_cmp_lt_u32_e32 vcc, s8, v4
                                        ; implicit-def: $vgpr1
	s_and_saveexec_b64 s[8:9], vcc
	s_xor_b64 s[8:9], exec, s[8:9]
; %bb.372:
	v_bfe_u32 v1, v0, 21, 1
	s_mov_b32 s10, 0x80fffff
	v_add3_u32 v1, v0, v1, s10
	v_lshrrev_b32_e32 v1, 21, v1
; %bb.373:
	s_andn2_saveexec_b64 s[8:9], s[8:9]
; %bb.374:
	s_mov_b32 s10, 0x43000000
	v_add_f32_e64 v1, |v0|, s10
; %bb.375:
	s_or_b64 exec, exec, s[8:9]
                                        ; implicit-def: $vgpr4
.LBB23_376:
	s_andn2_saveexec_b64 s[6:7], s[6:7]
; %bb.377:
	s_mov_b32 s8, 0x7f800000
	v_mov_b32_e32 v1, 0x7c
	v_mov_b32_e32 v5, 0x7f
	v_cmp_lt_u32_e32 vcc, s8, v4
	v_cndmask_b32_e32 v1, v1, v5, vcc
; %bb.378:
	s_or_b64 exec, exec, s[6:7]
	v_lshrrev_b32_e32 v4, 24, v0
	s_movk_i32 s6, 0x80
	v_and_or_b32 v1, v4, s6, v1
	global_store_byte v[2:3], v1, off
.LBB23_379:
	s_mov_b64 s[8:9], 0
	s_mov_b64 s[6:7], -1
.LBB23_380:
	s_andn2_b64 vcc, exec, s[8:9]
	s_cbranch_vccnz .LBB23_388
; %bb.381:
	v_mov_b32_e32 v1, 14
	v_cmp_gt_i16_sdwa s[10:11], v21, v1 src0_sel:BYTE_0 src1_sel:DWORD
	s_mov_b64 s[8:9], -1
	s_and_b64 vcc, exec, s[10:11]
	s_cbranch_vccz .LBB23_385
; %bb.382:
	v_mov_b32_e32 v1, 15
	v_cmp_eq_u16_sdwa s[8:9], v21, v1 src0_sel:BYTE_0 src1_sel:DWORD
	s_mov_b64 s[4:5], -1
	s_and_b64 vcc, exec, s[8:9]
	s_cbranch_vccz .LBB23_384
; %bb.383:
	v_bfe_u32 v1, v0, 16, 1
	s_movk_i32 s4, 0x7fff
	v_add3_u32 v1, v0, v1, s4
	v_lshrrev_b32_e32 v1, 16, v1
	v_mov_b32_e32 v4, 0x7fc0
	v_cmp_o_f32_e32 vcc, v0, v0
	v_cndmask_b32_e32 v1, v4, v1, vcc
	global_store_short v[2:3], v1, off
	s_mov_b64 s[6:7], -1
	s_mov_b64 s[4:5], 0
.LBB23_384:
	s_mov_b64 s[8:9], 0
.LBB23_385:
	s_and_b64 vcc, exec, s[8:9]
	s_cbranch_vccz .LBB23_388
; %bb.386:
	v_mov_b32_e32 v1, 11
	v_cmp_eq_u16_sdwa s[8:9], v21, v1 src0_sel:BYTE_0 src1_sel:DWORD
	s_mov_b64 s[4:5], -1
	s_and_b64 vcc, exec, s[8:9]
	s_cbranch_vccz .LBB23_388
; %bb.387:
	v_cmp_neq_f32_e32 vcc, 0, v0
	v_cndmask_b32_e64 v1, 0, 1, vcc
	s_mov_b64 s[6:7], -1
	s_mov_b64 s[4:5], 0
	global_store_byte v[2:3], v1, off
.LBB23_388:
	s_mov_b64 s[8:9], 0
.LBB23_389:
	s_and_b64 vcc, exec, s[8:9]
	s_cbranch_vccz .LBB23_428
; %bb.390:
	v_mov_b32_e32 v1, 5
	v_cmp_lt_i16_sdwa s[8:9], v21, v1 src0_sel:BYTE_0 src1_sel:DWORD
	s_mov_b64 s[6:7], -1
	s_and_b64 vcc, exec, s[8:9]
	s_cbranch_vccnz .LBB23_411
; %bb.391:
	v_mov_b32_e32 v1, 8
	v_cmp_lt_i16_sdwa s[8:9], v21, v1 src0_sel:BYTE_0 src1_sel:DWORD
	s_and_b64 vcc, exec, s[8:9]
	s_cbranch_vccnz .LBB23_401
; %bb.392:
	v_mov_b32_e32 v1, 9
	v_cmp_lt_i16_sdwa s[8:9], v21, v1 src0_sel:BYTE_0 src1_sel:DWORD
	s_and_b64 vcc, exec, s[8:9]
	s_cbranch_vccnz .LBB23_398
; %bb.393:
	v_cmp_gt_i16_sdwa s[8:9], v21, v1 src0_sel:BYTE_0 src1_sel:DWORD
	s_and_b64 vcc, exec, s[8:9]
	s_cbranch_vccz .LBB23_395
; %bb.394:
	v_mov_b32_e32 v6, 0
	v_cvt_f64_f32_e32 v[4:5], v0
	v_mov_b32_e32 v7, v6
	s_mov_b64 s[6:7], 0
	global_store_dwordx4 v[2:3], v[4:7], off
.LBB23_395:
	s_andn2_b64 vcc, exec, s[6:7]
	s_cbranch_vccnz .LBB23_397
; %bb.396:
	v_mov_b32_e32 v1, 0
	global_store_dwordx2 v[2:3], v[0:1], off
.LBB23_397:
	s_mov_b64 s[6:7], 0
.LBB23_398:
	s_andn2_b64 vcc, exec, s[6:7]
	s_cbranch_vccnz .LBB23_400
; %bb.399:
	v_cvt_f16_f32_e32 v1, v0
	global_store_dword v[2:3], v1, off
.LBB23_400:
	s_mov_b64 s[6:7], 0
.LBB23_401:
	s_andn2_b64 vcc, exec, s[6:7]
	s_cbranch_vccnz .LBB23_410
; %bb.402:
	v_mov_b32_e32 v1, 6
	v_cmp_lt_i16_sdwa s[8:9], v21, v1 src0_sel:BYTE_0 src1_sel:DWORD
	s_mov_b64 s[6:7], -1
	s_and_b64 vcc, exec, s[8:9]
	s_cbranch_vccnz .LBB23_408
; %bb.403:
	v_cmp_gt_i16_sdwa s[8:9], v21, v1 src0_sel:BYTE_0 src1_sel:DWORD
	s_and_b64 vcc, exec, s[8:9]
	s_cbranch_vccz .LBB23_405
; %bb.404:
	v_cvt_f64_f32_e32 v[4:5], v0
	s_mov_b64 s[6:7], 0
	global_store_dwordx2 v[2:3], v[4:5], off
.LBB23_405:
	s_andn2_b64 vcc, exec, s[6:7]
	s_cbranch_vccnz .LBB23_407
; %bb.406:
	global_store_dword v[2:3], v0, off
.LBB23_407:
	s_mov_b64 s[6:7], 0
.LBB23_408:
	s_andn2_b64 vcc, exec, s[6:7]
	s_cbranch_vccnz .LBB23_410
; %bb.409:
	v_cvt_f16_f32_e32 v1, v0
	global_store_short v[2:3], v1, off
.LBB23_410:
	s_mov_b64 s[6:7], 0
.LBB23_411:
	s_andn2_b64 vcc, exec, s[6:7]
	s_cbranch_vccnz .LBB23_427
; %bb.412:
	v_mov_b32_e32 v1, 2
	v_cmp_lt_i16_sdwa s[8:9], v21, v1 src0_sel:BYTE_0 src1_sel:DWORD
	s_mov_b64 s[6:7], -1
	s_and_b64 vcc, exec, s[8:9]
	s_cbranch_vccnz .LBB23_422
; %bb.413:
	v_mov_b32_e32 v1, 3
	v_cmp_lt_i16_sdwa s[8:9], v21, v1 src0_sel:BYTE_0 src1_sel:DWORD
	s_and_b64 vcc, exec, s[8:9]
	s_cbranch_vccnz .LBB23_419
; %bb.414:
	v_cmp_gt_i16_sdwa s[8:9], v21, v1 src0_sel:BYTE_0 src1_sel:DWORD
	s_and_b64 vcc, exec, s[8:9]
	s_cbranch_vccz .LBB23_416
; %bb.415:
	v_trunc_f32_e32 v1, v0
	s_mov_b32 s6, 0x2f800000
	v_mul_f32_e64 v4, |v1|, s6
	v_floor_f32_e32 v4, v4
	s_mov_b32 s6, 0xcf800000
	v_cvt_u32_f32_e32 v5, v4
	v_fma_f32 v4, v4, s6, |v1|
	v_cvt_u32_f32_e32 v4, v4
	v_ashrrev_i32_e32 v1, 31, v1
	v_xor_b32_e32 v5, v5, v1
	s_mov_b64 s[6:7], 0
	v_xor_b32_e32 v4, v4, v1
	v_sub_co_u32_e32 v4, vcc, v4, v1
	v_subb_co_u32_e32 v5, vcc, v5, v1, vcc
	global_store_dwordx2 v[2:3], v[4:5], off
.LBB23_416:
	s_andn2_b64 vcc, exec, s[6:7]
	s_cbranch_vccnz .LBB23_418
; %bb.417:
	v_cvt_i32_f32_e32 v1, v0
	global_store_dword v[2:3], v1, off
.LBB23_418:
	s_mov_b64 s[6:7], 0
.LBB23_419:
	s_andn2_b64 vcc, exec, s[6:7]
	s_cbranch_vccnz .LBB23_421
; %bb.420:
	v_cvt_i32_f32_e32 v1, v0
	global_store_short v[2:3], v1, off
.LBB23_421:
	s_mov_b64 s[6:7], 0
.LBB23_422:
	s_andn2_b64 vcc, exec, s[6:7]
	s_cbranch_vccnz .LBB23_427
; %bb.423:
	v_mov_b32_e32 v1, 0
	v_cmp_gt_i16_sdwa s[8:9], v21, v1 src0_sel:BYTE_0 src1_sel:DWORD
	s_mov_b64 s[6:7], -1
	s_and_b64 vcc, exec, s[8:9]
	s_cbranch_vccz .LBB23_425
; %bb.424:
	v_cvt_i32_f32_e32 v1, v0
	s_mov_b64 s[6:7], 0
	global_store_byte v[2:3], v1, off
.LBB23_425:
	s_andn2_b64 vcc, exec, s[6:7]
	s_cbranch_vccnz .LBB23_427
; %bb.426:
	v_trunc_f32_e32 v0, v0
	s_mov_b32 s6, 0x2f800000
	v_mul_f32_e64 v1, |v0|, s6
	v_floor_f32_e32 v1, v1
	s_mov_b32 s6, 0xcf800000
	v_fma_f32 v1, v1, s6, |v0|
	v_cvt_u32_f32_e32 v1, v1
	v_ashrrev_i32_e32 v0, 31, v0
	v_xor_b32_e32 v1, v1, v0
	v_sub_u32_e32 v0, v1, v0
	global_store_byte v[2:3], v0, off
.LBB23_427:
	s_mov_b64 s[6:7], -1
.LBB23_428:
	s_andn2_b64 vcc, exec, s[6:7]
	s_cbranch_vccnz .LBB23_430
; %bb.429:
	v_add_u32_e32 v24, 0x80, v24
	s_mov_b64 s[6:7], -1
	s_branch .LBB23_431
.LBB23_430:
	s_mov_b64 s[6:7], 0
                                        ; implicit-def: $vgpr24
.LBB23_431:
	s_andn2_b64 s[8:9], s[66:67], exec
	s_and_b64 s[4:5], s[4:5], exec
	s_or_b64 s[72:73], s[8:9], s[4:5]
	s_orn2_b64 s[6:7], s[6:7], exec
.LBB23_432:
	s_or_b64 exec, exec, s[70:71]
	s_mov_b64 s[4:5], 0
	s_mov_b64 s[10:11], 0
                                        ; implicit-def: $vgpr4
                                        ; implicit-def: $vgpr2_vgpr3
                                        ; implicit-def: $vgpr0
	s_and_saveexec_b64 s[70:71], s[6:7]
	s_cbranch_execz .LBB23_528
; %bb.433:
	v_cmp_gt_i32_e32 vcc, s74, v24
	s_mov_b64 s[6:7], 0
	s_mov_b64 s[8:9], s[72:73]
                                        ; implicit-def: $vgpr4
                                        ; implicit-def: $vgpr2_vgpr3
                                        ; implicit-def: $vgpr0
	s_and_saveexec_b64 s[74:75], vcc
	s_cbranch_execz .LBB23_527
; %bb.434:
	s_andn2_b64 vcc, exec, s[50:51]
	s_cbranch_vccnz .LBB23_440
; %bb.435:
	s_mov_b32 s24, 0
	s_andn2_b64 vcc, exec, s[60:61]
	v_mov_b32_e32 v2, 0
	v_mov_b32_e32 v22, 0
	s_cbranch_vccnz .LBB23_446
; %bb.436:
	s_add_i32 s77, s77, 1
	s_cmp_eq_u32 s76, 2
	s_cbranch_scc1 .LBB23_441
; %bb.437:
	s_and_b32 s24, s77, 28
	s_mov_b32 s25, 0
	v_mov_b32_e32 v22, 0
	s_mov_b64 s[26:27], s[34:35]
	v_mov_b32_e32 v0, v24
	v_mov_b32_e32 v2, 0
.LBB23_438:                             ; =>This Inner Loop Header: Depth=1
	s_load_dwordx8 s[12:19], s[26:27], 0x4
	s_load_dwordx4 s[20:23], s[26:27], 0x24
	s_load_dwordx8 s[4:11], s[58:59], 0x0
	s_add_u32 s26, s26, 48
	s_addc_u32 s27, s27, 0
	s_waitcnt lgkmcnt(0)
	v_mul_hi_u32 v1, s13, v0
	v_add_u32_e32 v1, v0, v1
	v_lshrrev_b32_e32 v1, s14, v1
	v_mul_lo_u32 v3, v1, s12
	v_mul_hi_u32 v4, s16, v1
	v_sub_u32_e32 v0, v0, v3
	v_add_u32_e32 v3, v1, v4
	v_lshrrev_b32_e32 v3, s17, v3
	v_mul_lo_u32 v5, v3, s15
	v_mul_hi_u32 v6, s19, v3
	v_sub_u32_e32 v1, v1, v5
	v_add_u32_e32 v5, v3, v6
	v_mul_lo_u32 v4, v0, s5
	v_mul_lo_u32 v0, v0, s4
	;; [unrolled: 1-line block ×4, first 2 shown]
	v_lshrrev_b32_e32 v5, s20, v5
	v_add3_u32 v1, v0, v22, v1
	v_add3_u32 v2, v4, v2, v6
	v_mul_lo_u32 v0, v5, s18
	v_mul_hi_u32 v4, s22, v5
	v_sub_u32_e32 v0, v3, v0
	v_add_u32_e32 v3, v5, v4
	v_mul_lo_u32 v4, v0, s8
	v_mul_lo_u32 v6, v0, s9
	v_lshrrev_b32_e32 v0, s23, v3
	s_add_i32 s25, s25, 4
	v_mul_lo_u32 v3, v0, s21
	s_add_u32 s58, s58, 32
	v_sub_u32_e32 v3, v5, v3
	s_addc_u32 s59, s59, 0
	v_mul_lo_u32 v5, v3, s10
	v_mul_lo_u32 v3, v3, s11
	s_cmp_eq_u32 s24, s25
	v_add3_u32 v2, v6, v2, v3
	v_add3_u32 v22, v4, v1, v5
	s_cbranch_scc0 .LBB23_438
; %bb.439:
	v_mov_b32_e32 v23, v2
	s_branch .LBB23_442
.LBB23_440:
	s_mov_b64 s[4:5], -1
                                        ; implicit-def: $vgpr2
                                        ; implicit-def: $vgpr22
	s_branch .LBB23_447
.LBB23_441:
	s_mov_b32 s25, s24
	v_pk_mov_b32 v[22:23], s[24:25], s[24:25] op_sel:[0,1]
                                        ; implicit-def: $vgpr2
	v_mov_b32_e32 v0, v24
.LBB23_442:
	s_and_b32 s8, s77, 3
	s_cmp_eq_u32 s8, 0
	s_cbranch_scc1 .LBB23_446
; %bb.443:
	s_lshl_b32 s4, s24, 3
	s_add_u32 s4, s4, s34
	s_addc_u32 s5, s35, 0
	s_add_u32 s4, s4, 0xc4
	s_addc_u32 s5, s5, 0
	s_mul_i32 s6, s24, 12
	s_add_u32 s6, s34, s6
	s_addc_u32 s7, s35, 0
.LBB23_444:                             ; =>This Inner Loop Header: Depth=1
	s_load_dwordx2 s[10:11], s[6:7], 0x4
	s_load_dword s9, s[6:7], 0xc
	s_load_dwordx2 s[12:13], s[4:5], 0x0
	s_add_u32 s6, s6, 12
	s_addc_u32 s7, s7, 0
	s_waitcnt lgkmcnt(0)
	v_mul_hi_u32 v1, s11, v0
	v_add_u32_e32 v1, v0, v1
	v_lshrrev_b32_e32 v1, s9, v1
	v_mul_lo_u32 v3, v1, s10
	v_mov_b32_e32 v2, v23
	s_add_u32 s4, s4, 8
	v_sub_u32_e32 v4, v0, v3
	s_addc_u32 s5, s5, 0
	s_add_i32 s8, s8, -1
	v_mad_u64_u32 v[2:3], s[10:11], v4, s13, v[2:3]
	v_mad_u64_u32 v[22:23], s[10:11], v4, s12, v[22:23]
	s_cmp_lg_u32 s8, 0
	v_mov_b32_e32 v0, v1
	v_mov_b32_e32 v23, v2
	s_cbranch_scc1 .LBB23_444
; %bb.445:
	v_mov_b32_e32 v2, v23
.LBB23_446:
	s_mov_b64 s[4:5], 0
.LBB23_447:
	s_andn2_b64 vcc, exec, s[4:5]
	s_cbranch_vccnz .LBB23_450
; %bb.448:
	s_waitcnt lgkmcnt(0)
	v_mul_hi_u32 v0, s45, v24
	v_add_u32_e32 v0, v24, v0
	v_lshrrev_b32_e32 v0, s46, v0
	v_mul_lo_u32 v1, v0, s44
	v_sub_u32_e32 v1, v24, v1
	v_mul_lo_u32 v2, v1, s41
	s_andn2_b64 vcc, exec, s[56:57]
	v_mul_lo_u32 v22, v1, s40
	s_cbranch_vccnz .LBB23_450
; %bb.449:
	v_mul_hi_u32 v1, s54, v0
	v_add_u32_e32 v1, v0, v1
	v_lshrrev_b32_e32 v1, s55, v1
	v_mul_lo_u32 v1, v1, s47
	v_sub_u32_e32 v0, v0, v1
	v_mad_u64_u32 v[22:23], s[4:5], v0, s42, v[22:23]
	v_mad_u64_u32 v[2:3], s[4:5], v0, s43, v[2:3]
.LBB23_450:
	s_waitcnt lgkmcnt(0)
	v_mov_b32_e32 v0, s38
	v_mov_b32_e32 v1, s39
	;; [unrolled: 1-line block ×3, first 2 shown]
	s_getpc_b64 s[4:5]
	s_add_u32 s4, s4, _ZN2at6native6invokeIZZZNS0_12_GLOBAL__N_130modified_bessel_k0_kernel_cudaERNS_18TensorIteratorBaseEENKUlvE_clEvENKUlvE0_clEvEUlfE_j15function_traitsIS7_EEENT1_11result_typeERKT_PrKPcPKT0_PKN3c1010ScalarTypeEi@rel32@lo+4
	s_addc_u32 s5, s5, _ZN2at6native6invokeIZZZNS0_12_GLOBAL__N_130modified_bessel_k0_kernel_cudaERNS_18TensorIteratorBaseEENKUlvE_clEvENKUlvE0_clEvEUlfE_j15function_traitsIS7_EEENT1_11result_typeERKT_PrKPcPKT0_PKN3c1010ScalarTypeEi@rel32@hi+12
	s_swappc_b64 s[30:31], s[4:5]
	v_mov_b32_e32 v1, s37
	v_add_co_u32_e32 v2, vcc, s36, v22
	v_addc_co_u32_e32 v3, vcc, 0, v1, vcc
	v_and_b32_e32 v4, 0xff, v21
	v_cmp_gt_i16_e32 vcc, 11, v4
	s_cbranch_vccnz .LBB23_467
; %bb.451:
	v_cmp_lt_i16_e32 vcc, 25, v4
	s_mov_b64 s[8:9], -1
	s_mov_b64 s[4:5], s[72:73]
	s_cbranch_vccz .LBB23_485
; %bb.452:
	v_cmp_lt_i16_e32 vcc, 28, v4
	s_mov_b64 s[6:7], -1
	s_mov_b64 s[4:5], s[72:73]
	s_cbranch_vccz .LBB23_469
; %bb.453:
	v_cmp_lt_i16_e32 vcc, 43, v4
	s_mov_b64 s[4:5], s[72:73]
	s_cbranch_vccz .LBB23_464
; %bb.454:
	v_cmp_lt_i16_e32 vcc, 45, v4
	s_mov_b64 s[4:5], s[72:73]
	s_cbranch_vccz .LBB23_458
; %bb.455:
	v_cmp_eq_u16_e32 vcc, 46, v4
	s_mov_b64 s[4:5], -1
	s_cbranch_vccz .LBB23_457
; %bb.456:
	v_bfe_u32 v1, v0, 16, 1
	s_movk_i32 s4, 0x7fff
	v_add3_u32 v1, v0, v1, s4
	v_lshrrev_b32_e32 v1, 16, v1
	v_mov_b32_e32 v5, 0x7fc0
	v_cmp_o_f32_e32 vcc, v0, v0
	v_cndmask_b32_e32 v1, v5, v1, vcc
	global_store_dword v[2:3], v1, off
	s_mov_b64 s[4:5], 0
.LBB23_457:
	s_mov_b64 s[6:7], 0
.LBB23_458:
	s_and_b64 vcc, exec, s[6:7]
	s_cbranch_vccz .LBB23_463
; %bb.459:
	v_cmp_eq_u16_e32 vcc, 44, v4
	s_mov_b64 s[4:5], -1
	s_cbranch_vccz .LBB23_463
; %bb.460:
	v_bfe_u32 v1, v0, 23, 8
	s_movk_i32 s4, 0xff
	v_cmp_ne_u32_e32 vcc, s4, v1
	v_mov_b32_e32 v5, 0xff
	s_and_saveexec_b64 s[6:7], vcc
; %bb.461:
	s_mov_b32 s4, 0x3fffff
	v_and_b32_e32 v6, 0x400000, v0
	v_and_or_b32 v1, v0, s4, v1
	v_cmp_ne_u32_e32 vcc, 0, v6
	v_cmp_ne_u32_e64 s[4:5], 0, v1
	s_and_b64 s[4:5], vcc, s[4:5]
	v_lshrrev_b32_e32 v5, 23, v0
	v_cndmask_b32_e64 v1, 0, 1, s[4:5]
	v_add_u32_e32 v5, v5, v1
; %bb.462:
	s_or_b64 exec, exec, s[6:7]
	s_mov_b64 s[4:5], 0
	global_store_byte v[2:3], v5, off
.LBB23_463:
	s_mov_b64 s[6:7], 0
.LBB23_464:
	s_and_b64 vcc, exec, s[6:7]
	s_cbranch_vccz .LBB23_468
; %bb.465:
	v_cmp_eq_u16_e32 vcc, 29, v4
	s_mov_b64 s[4:5], -1
	s_cbranch_vccz .LBB23_468
; %bb.466:
	v_trunc_f32_e32 v1, v0
	v_mul_f32_e32 v5, 0x2f800000, v1
	v_floor_f32_e32 v5, v5
	v_fmac_f32_e32 v1, 0xcf800000, v5
	v_cvt_u32_f32_e32 v7, v5
	v_cvt_u32_f32_e32 v6, v1
	s_mov_b64 s[4:5], 0
	s_mov_b64 s[6:7], 0
	global_store_dwordx2 v[2:3], v[6:7], off
	s_branch .LBB23_469
.LBB23_467:
	s_mov_b64 s[8:9], 0
	s_mov_b64 s[6:7], -1
	s_mov_b64 s[4:5], s[72:73]
	s_branch .LBB23_526
.LBB23_468:
	s_mov_b64 s[6:7], 0
.LBB23_469:
	s_and_b64 vcc, exec, s[6:7]
	s_cbranch_vccz .LBB23_484
; %bb.470:
	v_cmp_gt_i16_e32 vcc, 27, v4
	s_mov_b64 s[6:7], -1
	s_cbranch_vccnz .LBB23_476
; %bb.471:
	v_cvt_u32_f32_e32 v1, v0
	v_cmp_lt_i16_e32 vcc, 27, v4
	s_cbranch_vccz .LBB23_473
; %bb.472:
	s_mov_b64 s[6:7], 0
	global_store_dword v[2:3], v1, off
.LBB23_473:
	s_andn2_b64 vcc, exec, s[6:7]
	s_cbranch_vccnz .LBB23_475
; %bb.474:
	global_store_short v[2:3], v1, off
.LBB23_475:
	s_mov_b64 s[6:7], 0
.LBB23_476:
	s_andn2_b64 vcc, exec, s[6:7]
	s_cbranch_vccnz .LBB23_484
; %bb.477:
	v_and_b32_e32 v1, 0x7fffffff, v0
	s_mov_b32 s6, 0x43800000
	v_cmp_gt_u32_e32 vcc, s6, v1
	v_mov_b32_e32 v5, 0x80
	s_and_saveexec_b64 s[6:7], vcc
	s_cbranch_execz .LBB23_483
; %bb.478:
	s_mov_b32 s8, 0x3bffffff
	v_cmp_lt_u32_e32 vcc, s8, v1
	s_mov_b64 s[8:9], 0
                                        ; implicit-def: $vgpr1
	s_and_saveexec_b64 s[10:11], vcc
	s_xor_b64 s[10:11], exec, s[10:11]
	s_cbranch_execz .LBB23_1133
; %bb.479:
	v_bfe_u32 v1, v0, 20, 1
	s_mov_b32 s12, 0x487ffff
	v_add3_u32 v1, v0, v1, s12
	s_mov_b64 s[8:9], exec
	v_lshrrev_b32_e32 v1, 20, v1
	s_or_saveexec_b64 s[10:11], s[10:11]
                                        ; implicit-def: $sgpr12
	s_xor_b64 exec, exec, s[10:11]
	s_cbranch_execnz .LBB23_1134
.LBB23_480:
	s_or_b64 exec, exec, s[10:11]
	v_mov_b32_e32 v5, s12
	s_and_saveexec_b64 s[10:11], s[8:9]
.LBB23_481:
	v_lshrrev_b32_e32 v5, 24, v0
	s_movk_i32 s8, 0x80
	v_and_or_b32 v5, v5, s8, v1
.LBB23_482:
	s_or_b64 exec, exec, s[10:11]
.LBB23_483:
	s_or_b64 exec, exec, s[6:7]
	global_store_byte v[2:3], v5, off
.LBB23_484:
	s_mov_b64 s[8:9], 0
.LBB23_485:
	s_mov_b64 s[6:7], 0
	s_and_b64 vcc, exec, s[8:9]
	s_cbranch_vccz .LBB23_525
; %bb.486:
	v_cmp_lt_i16_e32 vcc, 22, v4
	s_mov_b64 s[8:9], -1
	s_cbranch_vccz .LBB23_518
; %bb.487:
	v_cmp_gt_i16_e32 vcc, 24, v4
	s_cbranch_vccnz .LBB23_507
; %bb.488:
	v_cmp_lt_i16_e32 vcc, 24, v4
	s_cbranch_vccz .LBB23_496
; %bb.489:
	v_and_b32_e32 v1, 0x7fffffff, v0
	s_mov_b32 s8, 0x47800000
	v_cmp_gt_u32_e32 vcc, s8, v1
	v_mov_b32_e32 v5, 0x80
	s_and_saveexec_b64 s[8:9], vcc
	s_cbranch_execz .LBB23_495
; %bb.490:
	s_mov_b32 s10, 0x37ffffff
	v_cmp_lt_u32_e32 vcc, s10, v1
	s_mov_b64 s[10:11], 0
                                        ; implicit-def: $vgpr1
	s_and_saveexec_b64 s[12:13], vcc
	s_xor_b64 s[12:13], exec, s[12:13]
	s_cbranch_execz .LBB23_1137
; %bb.491:
	v_bfe_u32 v1, v0, 21, 1
	s_mov_b32 s14, 0x88fffff
	v_add3_u32 v1, v0, v1, s14
	s_mov_b64 s[10:11], exec
	v_lshrrev_b32_e32 v1, 21, v1
	s_or_saveexec_b64 s[12:13], s[12:13]
                                        ; implicit-def: $sgpr14
	s_xor_b64 exec, exec, s[12:13]
	s_cbranch_execnz .LBB23_1138
.LBB23_492:
	s_or_b64 exec, exec, s[12:13]
	v_mov_b32_e32 v5, s14
	s_and_saveexec_b64 s[12:13], s[10:11]
.LBB23_493:
	v_lshrrev_b32_e32 v5, 24, v0
	s_movk_i32 s10, 0x80
	v_and_or_b32 v5, v5, s10, v1
.LBB23_494:
	s_or_b64 exec, exec, s[12:13]
.LBB23_495:
	s_or_b64 exec, exec, s[8:9]
	s_mov_b64 s[8:9], 0
	global_store_byte v[2:3], v5, off
.LBB23_496:
	s_and_b64 vcc, exec, s[8:9]
	s_cbranch_vccz .LBB23_506
; %bb.497:
	v_and_b32_e32 v5, 0x7fffffff, v0
	s_mov_b32 s8, 0x43f00000
	v_cmp_gt_u32_e32 vcc, s8, v5
                                        ; implicit-def: $vgpr1
	s_and_saveexec_b64 s[8:9], vcc
	s_xor_b64 s[8:9], exec, s[8:9]
	s_cbranch_execz .LBB23_503
; %bb.498:
	s_mov_b32 s10, 0x3c7fffff
	v_cmp_lt_u32_e32 vcc, s10, v5
                                        ; implicit-def: $vgpr1
	s_and_saveexec_b64 s[10:11], vcc
	s_xor_b64 s[10:11], exec, s[10:11]
; %bb.499:
	v_bfe_u32 v1, v0, 20, 1
	s_mov_b32 s12, 0x407ffff
	v_add3_u32 v1, v0, v1, s12
	v_lshrrev_b32_e32 v5, 20, v1
	v_and_b32_e32 v1, 0xff00000, v1
	s_mov_b32 s12, 0x7f00000
	v_mov_b32_e32 v6, 0x7e
	v_cmp_ne_u32_e32 vcc, s12, v1
	v_cndmask_b32_e32 v1, v6, v5, vcc
; %bb.500:
	s_andn2_saveexec_b64 s[10:11], s[10:11]
; %bb.501:
	s_mov_b32 s12, 0x46800000
	v_add_f32_e64 v1, |v0|, s12
; %bb.502:
	s_or_b64 exec, exec, s[10:11]
                                        ; implicit-def: $vgpr5
.LBB23_503:
	s_andn2_saveexec_b64 s[8:9], s[8:9]
; %bb.504:
	s_mov_b32 s10, 0x7f800000
	v_mov_b32_e32 v1, 0x7e
	v_mov_b32_e32 v6, 0x7f
	v_cmp_lt_u32_e32 vcc, s10, v5
	v_cndmask_b32_e32 v1, v1, v6, vcc
; %bb.505:
	s_or_b64 exec, exec, s[8:9]
	v_lshrrev_b32_e32 v5, 24, v0
	s_movk_i32 s8, 0x80
	v_and_or_b32 v1, v5, s8, v1
	global_store_byte v[2:3], v1, off
.LBB23_506:
	s_mov_b64 s[8:9], 0
.LBB23_507:
	s_andn2_b64 vcc, exec, s[8:9]
	s_cbranch_vccnz .LBB23_517
; %bb.508:
	v_and_b32_e32 v5, 0x7fffffff, v0
	s_mov_b32 s8, 0x47800000
	v_cmp_gt_u32_e32 vcc, s8, v5
                                        ; implicit-def: $vgpr1
	s_and_saveexec_b64 s[8:9], vcc
	s_xor_b64 s[8:9], exec, s[8:9]
	s_cbranch_execz .LBB23_514
; %bb.509:
	s_mov_b32 s10, 0x387fffff
	v_cmp_lt_u32_e32 vcc, s10, v5
                                        ; implicit-def: $vgpr1
	s_and_saveexec_b64 s[10:11], vcc
	s_xor_b64 s[10:11], exec, s[10:11]
; %bb.510:
	v_bfe_u32 v1, v0, 21, 1
	s_mov_b32 s12, 0x80fffff
	v_add3_u32 v1, v0, v1, s12
	v_lshrrev_b32_e32 v1, 21, v1
; %bb.511:
	s_andn2_saveexec_b64 s[10:11], s[10:11]
; %bb.512:
	s_mov_b32 s12, 0x43000000
	v_add_f32_e64 v1, |v0|, s12
; %bb.513:
	s_or_b64 exec, exec, s[10:11]
                                        ; implicit-def: $vgpr5
.LBB23_514:
	s_andn2_saveexec_b64 s[8:9], s[8:9]
; %bb.515:
	s_mov_b32 s10, 0x7f800000
	v_mov_b32_e32 v1, 0x7c
	v_mov_b32_e32 v6, 0x7f
	v_cmp_lt_u32_e32 vcc, s10, v5
	v_cndmask_b32_e32 v1, v1, v6, vcc
; %bb.516:
	s_or_b64 exec, exec, s[8:9]
	v_lshrrev_b32_e32 v5, 24, v0
	s_movk_i32 s8, 0x80
	v_and_or_b32 v1, v5, s8, v1
	global_store_byte v[2:3], v1, off
.LBB23_517:
	s_mov_b64 s[8:9], 0
.LBB23_518:
	s_andn2_b64 vcc, exec, s[8:9]
	s_mov_b64 s[8:9], 0
	s_cbranch_vccnz .LBB23_526
; %bb.519:
	v_cmp_lt_i16_e32 vcc, 14, v4
	s_mov_b64 s[10:11], -1
	s_cbranch_vccz .LBB23_523
; %bb.520:
	v_cmp_eq_u16_e32 vcc, 15, v4
	s_mov_b64 s[4:5], -1
	s_cbranch_vccz .LBB23_522
; %bb.521:
	v_bfe_u32 v1, v0, 16, 1
	s_movk_i32 s4, 0x7fff
	v_add3_u32 v1, v0, v1, s4
	v_lshrrev_b32_e32 v1, 16, v1
	v_mov_b32_e32 v5, 0x7fc0
	v_cmp_o_f32_e32 vcc, v0, v0
	v_cndmask_b32_e32 v1, v5, v1, vcc
	global_store_short v[2:3], v1, off
	s_mov_b64 s[4:5], 0
.LBB23_522:
	s_mov_b64 s[10:11], 0
.LBB23_523:
	s_and_b64 vcc, exec, s[10:11]
	s_cbranch_vccz .LBB23_526
; %bb.524:
	v_cmp_ne_u16_e32 vcc, 11, v4
	s_andn2_b64 s[4:5], s[4:5], exec
	s_and_b64 s[10:11], vcc, exec
	s_mov_b64 s[8:9], -1
	s_or_b64 s[4:5], s[4:5], s[10:11]
	s_branch .LBB23_526
.LBB23_525:
	s_mov_b64 s[8:9], 0
.LBB23_526:
	s_and_b64 s[10:11], s[6:7], exec
	s_and_b64 s[6:7], s[8:9], exec
	s_andn2_b64 s[8:9], s[72:73], exec
	s_and_b64 s[4:5], s[4:5], exec
	s_or_b64 s[8:9], s[8:9], s[4:5]
.LBB23_527:
	s_or_b64 exec, exec, s[74:75]
	s_and_b64 s[4:5], s[6:7], exec
	s_andn2_b64 s[6:7], s[72:73], exec
	s_and_b64 s[8:9], s[8:9], exec
	s_and_b64 s[10:11], s[10:11], exec
	s_or_b64 s[72:73], s[6:7], s[8:9]
.LBB23_528:
	s_or_b64 exec, exec, s[70:71]
	s_and_b64 s[6:7], s[10:11], exec
	s_andn2_b64 s[8:9], s[66:67], exec
	s_and_b64 s[10:11], s[72:73], exec
	s_and_b64 s[4:5], s[4:5], exec
	s_or_b64 s[66:67], s[8:9], s[10:11]
.LBB23_529:
	s_or_b64 exec, exec, s[68:69]
	s_and_b64 s[68:69], s[4:5], exec
	s_andn2_b64 s[4:5], s[62:63], exec
	s_and_b64 s[8:9], s[66:67], exec
	s_and_b64 s[6:7], s[6:7], exec
	s_or_b64 s[62:63], s[4:5], s[8:9]
	s_or_b64 exec, exec, s[64:65]
	s_mov_b64 s[4:5], 0
	s_and_saveexec_b64 s[8:9], s[62:63]
	s_cbranch_execz .LBB23_148
.LBB23_530:
	s_mov_b64 s[4:5], exec
	s_andn2_b64 s[68:69], s[68:69], exec
	s_trap 2
	s_or_b64 exec, exec, s[8:9]
	s_and_saveexec_b64 s[8:9], s[68:69]
	s_xor_b64 s[8:9], exec, s[8:9]
	s_cbranch_execnz .LBB23_149
.LBB23_531:
	s_or_b64 exec, exec, s[8:9]
	s_and_saveexec_b64 s[8:9], s[6:7]
	s_xor_b64 s[6:7], exec, s[8:9]
	s_cbranch_execz .LBB23_569
.LBB23_532:
	v_cmp_gt_i16_e32 vcc, 5, v4
	s_mov_b64 s[8:9], -1
	s_cbranch_vccnz .LBB23_553
; %bb.533:
	v_cmp_gt_i16_e32 vcc, 8, v4
	s_cbranch_vccnz .LBB23_543
; %bb.534:
	v_cmp_gt_i16_e32 vcc, 9, v4
	s_cbranch_vccnz .LBB23_540
; %bb.535:
	v_cmp_lt_i16_e32 vcc, 9, v4
	s_cbranch_vccz .LBB23_537
; %bb.536:
	v_mov_b32_e32 v8, 0
	v_cvt_f64_f32_e32 v[6:7], v0
	v_mov_b32_e32 v9, v8
	s_mov_b64 s[8:9], 0
	global_store_dwordx4 v[2:3], v[6:9], off
.LBB23_537:
	s_andn2_b64 vcc, exec, s[8:9]
	s_cbranch_vccnz .LBB23_539
; %bb.538:
	v_mov_b32_e32 v1, 0
	global_store_dwordx2 v[2:3], v[0:1], off
.LBB23_539:
	s_mov_b64 s[8:9], 0
.LBB23_540:
	s_andn2_b64 vcc, exec, s[8:9]
	s_cbranch_vccnz .LBB23_542
; %bb.541:
	v_cvt_f16_f32_e32 v1, v0
	global_store_dword v[2:3], v1, off
.LBB23_542:
	s_mov_b64 s[8:9], 0
.LBB23_543:
	s_andn2_b64 vcc, exec, s[8:9]
	s_cbranch_vccnz .LBB23_552
; %bb.544:
	v_cmp_gt_i16_e32 vcc, 6, v4
	s_mov_b64 s[8:9], -1
	s_cbranch_vccnz .LBB23_550
; %bb.545:
	v_cmp_lt_i16_e32 vcc, 6, v4
	s_cbranch_vccz .LBB23_547
; %bb.546:
	v_cvt_f64_f32_e32 v[6:7], v0
	s_mov_b64 s[8:9], 0
	global_store_dwordx2 v[2:3], v[6:7], off
.LBB23_547:
	s_andn2_b64 vcc, exec, s[8:9]
	s_cbranch_vccnz .LBB23_549
; %bb.548:
	global_store_dword v[2:3], v0, off
.LBB23_549:
	s_mov_b64 s[8:9], 0
.LBB23_550:
	s_andn2_b64 vcc, exec, s[8:9]
	s_cbranch_vccnz .LBB23_552
; %bb.551:
	v_cvt_f16_f32_e32 v1, v0
	global_store_short v[2:3], v1, off
.LBB23_552:
	s_mov_b64 s[8:9], 0
.LBB23_553:
	s_andn2_b64 vcc, exec, s[8:9]
	s_cbranch_vccnz .LBB23_569
; %bb.554:
	v_cmp_gt_i16_e32 vcc, 2, v4
	s_mov_b64 s[8:9], -1
	s_cbranch_vccnz .LBB23_564
; %bb.555:
	v_cmp_gt_i16_e32 vcc, 3, v4
	s_cbranch_vccnz .LBB23_561
; %bb.556:
	v_cmp_lt_i16_e32 vcc, 3, v4
	s_cbranch_vccz .LBB23_558
; %bb.557:
	v_trunc_f32_e32 v1, v0
	s_mov_b32 s8, 0x2f800000
	v_mul_f32_e64 v5, |v1|, s8
	v_floor_f32_e32 v5, v5
	s_mov_b32 s8, 0xcf800000
	v_cvt_u32_f32_e32 v6, v5
	v_fma_f32 v5, v5, s8, |v1|
	v_cvt_u32_f32_e32 v5, v5
	v_ashrrev_i32_e32 v1, 31, v1
	v_xor_b32_e32 v7, v6, v1
	s_mov_b64 s[8:9], 0
	v_xor_b32_e32 v5, v5, v1
	v_sub_co_u32_e32 v6, vcc, v5, v1
	v_subb_co_u32_e32 v7, vcc, v7, v1, vcc
	global_store_dwordx2 v[2:3], v[6:7], off
.LBB23_558:
	s_andn2_b64 vcc, exec, s[8:9]
	s_cbranch_vccnz .LBB23_560
; %bb.559:
	v_cvt_i32_f32_e32 v1, v0
	global_store_dword v[2:3], v1, off
.LBB23_560:
	s_mov_b64 s[8:9], 0
.LBB23_561:
	s_andn2_b64 vcc, exec, s[8:9]
	s_cbranch_vccnz .LBB23_563
; %bb.562:
	v_cvt_i32_f32_e32 v1, v0
	global_store_short v[2:3], v1, off
.LBB23_563:
	s_mov_b64 s[8:9], 0
.LBB23_564:
	s_andn2_b64 vcc, exec, s[8:9]
	s_cbranch_vccnz .LBB23_569
; %bb.565:
	v_cmp_lt_i16_e32 vcc, 0, v4
	s_mov_b64 s[8:9], -1
	s_cbranch_vccz .LBB23_567
; %bb.566:
	v_cvt_i32_f32_e32 v1, v0
	s_mov_b64 s[8:9], 0
	global_store_byte v[2:3], v1, off
.LBB23_567:
	s_andn2_b64 vcc, exec, s[8:9]
	s_cbranch_vccnz .LBB23_569
; %bb.568:
	v_trunc_f32_e32 v0, v0
	s_mov_b32 s8, 0x2f800000
	v_mul_f32_e64 v1, |v0|, s8
	v_floor_f32_e32 v1, v1
	s_mov_b32 s8, 0xcf800000
	v_fma_f32 v1, v1, s8, |v0|
	v_cvt_u32_f32_e32 v1, v1
	v_ashrrev_i32_e32 v0, 31, v0
	v_xor_b32_e32 v1, v1, v0
	v_sub_u32_e32 v0, v1, v0
	global_store_byte v[2:3], v0, off
.LBB23_569:
	s_or_b64 exec, exec, s[6:7]
	s_waitcnt lgkmcnt(0)
	s_and_b64 s[40:41], s[4:5], exec
                                        ; implicit-def: $vgpr1
                                        ; implicit-def: $vgpr24
.LBB23_570:
	s_or_saveexec_b64 s[42:43], s[52:53]
	s_mov_b64 s[4:5], 0
                                        ; implicit-def: $vgpr4
                                        ; implicit-def: $vgpr2_vgpr3
                                        ; implicit-def: $vgpr0
	s_xor_b64 exec, exec, s[42:43]
	s_cbranch_execz .LBB23_1078
; %bb.571:
	v_cndmask_b32_e64 v0, 0, 1, s[50:51]
	v_cmp_ne_u32_e64 s[4:5], 1, v0
	s_andn2_b64 vcc, exec, s[50:51]
	s_cbranch_vccnz .LBB23_578
; %bb.572:
	s_mov_b32 s6, 0
	s_cmp_lg_u32 s33, 0
	v_mov_b32_e32 v2, 0
	v_mov_b32_e32 v36, 0
	s_cbranch_scc0 .LBB23_577
; %bb.573:
	s_min_u32 s38, s76, 15
	s_add_i32 s38, s38, 1
	s_cmp_eq_u32 s76, 2
	s_cbranch_scc1 .LBB23_579
; %bb.574:
	s_add_u32 s30, s34, 0xc4
	s_addc_u32 s31, s35, 0
	s_and_b32 s6, s38, 28
	s_mov_b32 s7, 0
	v_mov_b32_e32 v36, 0
	s_mov_b64 s[36:37], s[34:35]
	v_mov_b32_e32 v0, v24
	v_mov_b32_e32 v2, 0
.LBB23_575:                             ; =>This Inner Loop Header: Depth=1
	s_load_dwordx8 s[16:23], s[36:37], 0x4
	s_load_dwordx4 s[24:27], s[36:37], 0x24
	s_load_dwordx8 s[8:15], s[30:31], 0x0
	s_add_u32 s36, s36, 48
	s_addc_u32 s37, s37, 0
	s_waitcnt lgkmcnt(0)
	v_mul_hi_u32 v3, s17, v0
	v_add_u32_e32 v3, v0, v3
	v_lshrrev_b32_e32 v3, s18, v3
	v_mul_lo_u32 v4, v3, s16
	v_mul_hi_u32 v5, s20, v3
	v_sub_u32_e32 v0, v0, v4
	v_add_u32_e32 v4, v3, v5
	v_lshrrev_b32_e32 v4, s21, v4
	v_mul_lo_u32 v6, v4, s19
	v_mul_hi_u32 v7, s23, v4
	v_sub_u32_e32 v3, v3, v6
	v_add_u32_e32 v6, v4, v7
	v_mul_lo_u32 v5, v0, s9
	v_mul_lo_u32 v0, v0, s8
	;; [unrolled: 1-line block ×4, first 2 shown]
	v_lshrrev_b32_e32 v6, s24, v6
	v_add3_u32 v3, v0, v36, v3
	v_add3_u32 v2, v5, v2, v7
	v_mul_lo_u32 v0, v6, s22
	v_mul_hi_u32 v5, s26, v6
	v_sub_u32_e32 v0, v4, v0
	v_add_u32_e32 v4, v6, v5
	v_mul_lo_u32 v5, v0, s12
	v_mul_lo_u32 v7, v0, s13
	v_lshrrev_b32_e32 v0, s27, v4
	s_add_i32 s7, s7, 4
	v_mul_lo_u32 v4, v0, s25
	s_add_u32 s30, s30, 32
	v_sub_u32_e32 v4, v6, v4
	s_addc_u32 s31, s31, 0
	v_mul_lo_u32 v6, v4, s14
	v_mul_lo_u32 v4, v4, s15
	s_cmp_lg_u32 s6, s7
	v_add3_u32 v2, v7, v2, v4
	v_add3_u32 v36, v5, v3, v6
	s_cbranch_scc1 .LBB23_575
; %bb.576:
	v_mov_b32_e32 v37, v2
	s_and_b32 s10, s38, 3
	s_cmp_eq_u32 s10, 0
	s_cbranch_scc0 .LBB23_580
.LBB23_577:
	s_cbranch_execz .LBB23_583
	s_branch .LBB23_585
.LBB23_578:
                                        ; implicit-def: $vgpr2
                                        ; implicit-def: $vgpr36
	s_branch .LBB23_583
.LBB23_579:
	s_mov_b32 s7, s6
	v_pk_mov_b32 v[36:37], s[6:7], s[6:7] op_sel:[0,1]
                                        ; implicit-def: $vgpr2
	v_mov_b32_e32 v0, v24
	s_and_b32 s10, s38, 3
	s_cmp_eq_u32 s10, 0
	s_cbranch_scc1 .LBB23_577
.LBB23_580:
	s_lshl_b32 s7, s6, 3
	s_add_u32 s7, s7, s34
	s_addc_u32 s9, 0, s35
	s_add_u32 s8, s7, 0xc4
	s_addc_u32 s9, s9, 0
	s_mul_i32 s6, s6, 12
	s_add_u32 s6, s34, s6
	s_addc_u32 s7, 0, s35
.LBB23_581:                             ; =>This Inner Loop Header: Depth=1
	s_load_dwordx2 s[12:13], s[6:7], 0x4
	s_load_dword s11, s[6:7], 0xc
	s_load_dwordx2 s[14:15], s[8:9], 0x0
	s_add_u32 s6, s6, 12
	s_addc_u32 s7, s7, 0
	s_waitcnt lgkmcnt(0)
	v_mul_hi_u32 v3, s13, v0
	v_add_u32_e32 v3, v0, v3
	v_lshrrev_b32_e32 v3, s11, v3
	v_mul_lo_u32 v4, v3, s12
	v_mov_b32_e32 v2, v37
	s_add_u32 s8, s8, 8
	v_sub_u32_e32 v4, v0, v4
	s_addc_u32 s9, s9, 0
	s_add_i32 s10, s10, -1
	v_mov_b32_e32 v0, v3
	v_mad_u64_u32 v[2:3], s[12:13], v4, s15, v[2:3]
	v_mad_u64_u32 v[36:37], s[12:13], v4, s14, v[36:37]
	s_cmp_lg_u32 s10, 0
	v_mov_b32_e32 v37, v2
	s_cbranch_scc1 .LBB23_581
; %bb.582:
	v_mov_b32_e32 v2, v37
	s_cbranch_execnz .LBB23_585
.LBB23_583:
	s_load_dwordx4 s[8:11], s[34:35], 0x4
	s_load_dwordx2 s[6:7], s[34:35], 0xc4
	s_cmp_lt_u32 s33, 2
	s_waitcnt lgkmcnt(0)
	v_mul_hi_u32 v0, s9, v24
	v_add_u32_e32 v0, v24, v0
	v_lshrrev_b32_e32 v0, s10, v0
	v_mul_lo_u32 v2, v0, s8
	v_sub_u32_e32 v3, v24, v2
	v_mul_lo_u32 v2, v3, s7
	v_mul_lo_u32 v36, v3, s6
	s_cbranch_scc1 .LBB23_585
; %bb.584:
	s_load_dwordx4 s[8:11], s[34:35], 0x10
	s_load_dwordx2 s[6:7], s[34:35], 0xcc
	s_waitcnt lgkmcnt(0)
	v_mul_hi_u32 v3, s9, v0
	v_add_u32_e32 v3, v0, v3
	v_lshrrev_b32_e32 v3, s10, v3
	v_mul_lo_u32 v3, v3, s8
	v_sub_u32_e32 v0, v0, v3
	v_mad_u64_u32 v[36:37], s[8:9], v0, s6, v[36:37]
	v_mad_u64_u32 v[2:3], s[6:7], v0, s7, v[2:3]
.LBB23_585:
	s_and_b64 vcc, exec, s[4:5]
	v_add_u32_e32 v0, 0x80, v24
	s_cbranch_vccnz .LBB23_592
; %bb.586:
	s_mov_b32 s6, 0
	s_cmp_lg_u32 s33, 0
	v_mov_b32_e32 v20, 0
	v_mov_b32_e32 v34, 0
	s_cbranch_scc0 .LBB23_591
; %bb.587:
	s_min_u32 s38, s76, 15
	s_add_i32 s38, s38, 1
	s_cmp_eq_u32 s76, 2
	s_cbranch_scc1 .LBB23_593
; %bb.588:
	s_add_u32 s30, s34, 0xc4
	s_addc_u32 s31, s35, 0
	s_and_b32 s6, s38, 28
	s_mov_b32 s7, 0
	v_mov_b32_e32 v34, 0
	s_mov_b64 s[36:37], s[34:35]
	v_mov_b32_e32 v3, v0
	v_mov_b32_e32 v20, 0
.LBB23_589:                             ; =>This Inner Loop Header: Depth=1
	s_load_dwordx8 s[16:23], s[36:37], 0x4
	s_load_dwordx4 s[24:27], s[36:37], 0x24
	s_load_dwordx8 s[8:15], s[30:31], 0x0
	s_add_u32 s36, s36, 48
	s_addc_u32 s37, s37, 0
	s_waitcnt lgkmcnt(0)
	v_mul_hi_u32 v4, s17, v3
	v_add_u32_e32 v4, v3, v4
	v_lshrrev_b32_e32 v4, s18, v4
	v_mul_lo_u32 v5, v4, s16
	v_mul_hi_u32 v6, s20, v4
	v_sub_u32_e32 v3, v3, v5
	v_add_u32_e32 v5, v4, v6
	v_lshrrev_b32_e32 v5, s21, v5
	v_mul_lo_u32 v7, v5, s19
	v_mul_hi_u32 v8, s23, v5
	v_sub_u32_e32 v4, v4, v7
	v_add_u32_e32 v7, v5, v8
	v_mul_lo_u32 v6, v3, s9
	v_mul_lo_u32 v3, v3, s8
	;; [unrolled: 1-line block ×4, first 2 shown]
	v_lshrrev_b32_e32 v7, s24, v7
	v_add3_u32 v4, v3, v34, v4
	v_add3_u32 v6, v6, v20, v8
	v_mul_lo_u32 v3, v7, s22
	v_mul_hi_u32 v8, s26, v7
	v_sub_u32_e32 v3, v5, v3
	v_add_u32_e32 v5, v7, v8
	v_mul_lo_u32 v8, v3, s12
	v_mul_lo_u32 v9, v3, s13
	v_lshrrev_b32_e32 v3, s27, v5
	s_add_i32 s7, s7, 4
	v_mul_lo_u32 v5, v3, s25
	s_add_u32 s30, s30, 32
	v_sub_u32_e32 v5, v7, v5
	s_addc_u32 s31, s31, 0
	v_mul_lo_u32 v7, v5, s14
	v_mul_lo_u32 v5, v5, s15
	s_cmp_lg_u32 s6, s7
	v_add3_u32 v20, v9, v6, v5
	v_add3_u32 v34, v8, v4, v7
	s_cbranch_scc1 .LBB23_589
; %bb.590:
	v_mov_b32_e32 v35, v20
	s_and_b32 s10, s38, 3
	s_cmp_eq_u32 s10, 0
	s_cbranch_scc0 .LBB23_594
.LBB23_591:
	s_cbranch_execz .LBB23_597
	s_branch .LBB23_599
.LBB23_592:
                                        ; implicit-def: $vgpr20
                                        ; implicit-def: $vgpr34
	s_branch .LBB23_597
.LBB23_593:
	s_mov_b32 s7, s6
	v_pk_mov_b32 v[34:35], s[6:7], s[6:7] op_sel:[0,1]
                                        ; implicit-def: $vgpr20
	v_mov_b32_e32 v3, v0
	s_and_b32 s10, s38, 3
	s_cmp_eq_u32 s10, 0
	s_cbranch_scc1 .LBB23_591
.LBB23_594:
	s_lshl_b32 s7, s6, 3
	s_add_u32 s7, s7, s34
	s_addc_u32 s9, 0, s35
	s_add_u32 s8, s7, 0xc4
	s_addc_u32 s9, s9, 0
	s_mul_i32 s6, s6, 12
	s_add_u32 s6, s34, s6
	s_addc_u32 s7, 0, s35
.LBB23_595:                             ; =>This Inner Loop Header: Depth=1
	s_load_dwordx2 s[12:13], s[6:7], 0x4
	s_load_dword s11, s[6:7], 0xc
	s_load_dwordx2 s[14:15], s[8:9], 0x0
	s_add_u32 s6, s6, 12
	s_addc_u32 s7, s7, 0
	s_waitcnt lgkmcnt(0)
	v_mul_hi_u32 v5, s13, v3
	v_add_u32_e32 v5, v3, v5
	v_lshrrev_b32_e32 v5, s11, v5
	v_mul_lo_u32 v6, v5, s12
	v_mov_b32_e32 v4, v35
	s_add_u32 s8, s8, 8
	v_sub_u32_e32 v6, v3, v6
	s_addc_u32 s9, s9, 0
	s_add_i32 s10, s10, -1
	v_mov_b32_e32 v3, v5
	v_mad_u64_u32 v[4:5], s[12:13], v6, s15, v[4:5]
	v_mad_u64_u32 v[34:35], s[12:13], v6, s14, v[34:35]
	s_cmp_lg_u32 s10, 0
	v_mov_b32_e32 v35, v4
	s_cbranch_scc1 .LBB23_595
; %bb.596:
	v_mov_b32_e32 v20, v35
	s_cbranch_execnz .LBB23_599
.LBB23_597:
	s_load_dwordx4 s[8:11], s[34:35], 0x4
	s_load_dwordx2 s[6:7], s[34:35], 0xc4
	s_cmp_lt_u32 s33, 2
	s_waitcnt lgkmcnt(0)
	v_mul_hi_u32 v3, s9, v0
	v_add_u32_e32 v3, v0, v3
	v_lshrrev_b32_e32 v3, s10, v3
	v_mul_lo_u32 v4, v3, s8
	v_sub_u32_e32 v0, v0, v4
	v_mul_lo_u32 v20, v0, s7
	v_mul_lo_u32 v34, v0, s6
	s_cbranch_scc1 .LBB23_599
; %bb.598:
	s_load_dwordx4 s[8:11], s[34:35], 0x10
	s_load_dwordx2 s[6:7], s[34:35], 0xcc
	s_waitcnt lgkmcnt(0)
	v_mul_hi_u32 v0, s9, v3
	v_add_u32_e32 v0, v3, v0
	v_lshrrev_b32_e32 v0, s10, v0
	v_mul_lo_u32 v0, v0, s8
	v_sub_u32_e32 v0, v3, v0
	v_mad_u64_u32 v[34:35], s[8:9], v0, s6, v[34:35]
	v_mad_u64_u32 v[20:21], s[6:7], v0, s7, v[20:21]
.LBB23_599:
	s_and_b64 vcc, exec, s[4:5]
	v_add_u32_e32 v0, 0x100, v24
	s_cbranch_vccnz .LBB23_606
; %bb.600:
	s_mov_b32 s6, 0
	s_cmp_lg_u32 s33, 0
	v_mov_b32_e32 v26, 0
	v_mov_b32_e32 v32, 0
	s_cbranch_scc0 .LBB23_605
; %bb.601:
	s_min_u32 s38, s76, 15
	s_add_i32 s38, s38, 1
	s_cmp_eq_u32 s76, 2
	s_cbranch_scc1 .LBB23_607
; %bb.602:
	s_add_u32 s30, s34, 0xc4
	s_addc_u32 s31, s35, 0
	s_and_b32 s6, s38, 28
	s_mov_b32 s7, 0
	v_mov_b32_e32 v32, 0
	s_mov_b64 s[36:37], s[34:35]
	v_mov_b32_e32 v3, v0
	v_mov_b32_e32 v26, 0
.LBB23_603:                             ; =>This Inner Loop Header: Depth=1
	s_load_dwordx8 s[16:23], s[36:37], 0x4
	s_load_dwordx4 s[24:27], s[36:37], 0x24
	s_load_dwordx8 s[8:15], s[30:31], 0x0
	s_add_u32 s36, s36, 48
	s_addc_u32 s37, s37, 0
	s_waitcnt lgkmcnt(0)
	v_mul_hi_u32 v4, s17, v3
	v_add_u32_e32 v4, v3, v4
	v_lshrrev_b32_e32 v4, s18, v4
	v_mul_lo_u32 v5, v4, s16
	v_mul_hi_u32 v6, s20, v4
	v_sub_u32_e32 v3, v3, v5
	v_add_u32_e32 v5, v4, v6
	v_lshrrev_b32_e32 v5, s21, v5
	v_mul_lo_u32 v7, v5, s19
	v_mul_hi_u32 v8, s23, v5
	v_sub_u32_e32 v4, v4, v7
	v_add_u32_e32 v7, v5, v8
	v_mul_lo_u32 v6, v3, s9
	v_mul_lo_u32 v3, v3, s8
	;; [unrolled: 1-line block ×4, first 2 shown]
	v_lshrrev_b32_e32 v7, s24, v7
	v_add3_u32 v4, v3, v32, v4
	v_add3_u32 v6, v6, v26, v8
	v_mul_lo_u32 v3, v7, s22
	v_mul_hi_u32 v8, s26, v7
	v_sub_u32_e32 v3, v5, v3
	v_add_u32_e32 v5, v7, v8
	v_mul_lo_u32 v8, v3, s12
	v_mul_lo_u32 v9, v3, s13
	v_lshrrev_b32_e32 v3, s27, v5
	s_add_i32 s7, s7, 4
	v_mul_lo_u32 v5, v3, s25
	s_add_u32 s30, s30, 32
	v_sub_u32_e32 v5, v7, v5
	s_addc_u32 s31, s31, 0
	v_mul_lo_u32 v7, v5, s14
	v_mul_lo_u32 v5, v5, s15
	s_cmp_lg_u32 s6, s7
	v_add3_u32 v26, v9, v6, v5
	v_add3_u32 v32, v8, v4, v7
	s_cbranch_scc1 .LBB23_603
; %bb.604:
	v_mov_b32_e32 v33, v26
	s_and_b32 s10, s38, 3
	s_cmp_eq_u32 s10, 0
	s_cbranch_scc0 .LBB23_608
.LBB23_605:
	s_cbranch_execz .LBB23_611
	s_branch .LBB23_613
.LBB23_606:
                                        ; implicit-def: $vgpr26
                                        ; implicit-def: $vgpr32
	s_branch .LBB23_611
.LBB23_607:
	s_mov_b32 s7, s6
	v_pk_mov_b32 v[32:33], s[6:7], s[6:7] op_sel:[0,1]
                                        ; implicit-def: $vgpr26
	v_mov_b32_e32 v3, v0
	s_and_b32 s10, s38, 3
	s_cmp_eq_u32 s10, 0
	s_cbranch_scc1 .LBB23_605
.LBB23_608:
	s_lshl_b32 s7, s6, 3
	s_add_u32 s7, s7, s34
	s_addc_u32 s9, 0, s35
	s_add_u32 s8, s7, 0xc4
	s_addc_u32 s9, s9, 0
	s_mul_i32 s6, s6, 12
	s_add_u32 s6, s34, s6
	s_addc_u32 s7, 0, s35
.LBB23_609:                             ; =>This Inner Loop Header: Depth=1
	s_load_dwordx2 s[12:13], s[6:7], 0x4
	s_load_dword s11, s[6:7], 0xc
	s_load_dwordx2 s[14:15], s[8:9], 0x0
	s_add_u32 s6, s6, 12
	s_addc_u32 s7, s7, 0
	s_waitcnt lgkmcnt(0)
	v_mul_hi_u32 v5, s13, v3
	v_add_u32_e32 v5, v3, v5
	v_lshrrev_b32_e32 v5, s11, v5
	v_mul_lo_u32 v6, v5, s12
	v_mov_b32_e32 v4, v33
	s_add_u32 s8, s8, 8
	v_sub_u32_e32 v6, v3, v6
	s_addc_u32 s9, s9, 0
	s_add_i32 s10, s10, -1
	v_mov_b32_e32 v3, v5
	v_mad_u64_u32 v[4:5], s[12:13], v6, s15, v[4:5]
	v_mad_u64_u32 v[32:33], s[12:13], v6, s14, v[32:33]
	s_cmp_lg_u32 s10, 0
	v_mov_b32_e32 v33, v4
	s_cbranch_scc1 .LBB23_609
; %bb.610:
	v_mov_b32_e32 v26, v33
	s_cbranch_execnz .LBB23_613
.LBB23_611:
	s_load_dwordx4 s[8:11], s[34:35], 0x4
	s_load_dwordx2 s[6:7], s[34:35], 0xc4
	s_cmp_lt_u32 s33, 2
	s_waitcnt lgkmcnt(0)
	v_mul_hi_u32 v3, s9, v0
	v_add_u32_e32 v3, v0, v3
	v_lshrrev_b32_e32 v3, s10, v3
	v_mul_lo_u32 v4, v3, s8
	v_sub_u32_e32 v0, v0, v4
	v_mul_lo_u32 v26, v0, s7
	v_mul_lo_u32 v32, v0, s6
	s_cbranch_scc1 .LBB23_613
; %bb.612:
	s_load_dwordx4 s[8:11], s[34:35], 0x10
	s_load_dwordx2 s[6:7], s[34:35], 0xcc
	s_waitcnt lgkmcnt(0)
	v_mul_hi_u32 v0, s9, v3
	v_add_u32_e32 v0, v3, v0
	v_lshrrev_b32_e32 v0, s10, v0
	v_mul_lo_u32 v0, v0, s8
	v_sub_u32_e32 v0, v3, v0
	v_mad_u64_u32 v[32:33], s[8:9], v0, s6, v[32:33]
	v_mad_u64_u32 v[26:27], s[6:7], v0, s7, v[26:27]
.LBB23_613:
	s_and_b64 vcc, exec, s[4:5]
	s_cbranch_vccnz .LBB23_620
; %bb.614:
	s_mov_b32 s24, 0
	s_cmp_lg_u32 s33, 0
	v_mov_b32_e32 v28, 0
	v_mov_b32_e32 v30, 0
	s_cbranch_scc0 .LBB23_619
; %bb.615:
	s_min_u32 s36, s76, 15
	s_add_i32 s36, s36, 1
	s_cmp_eq_u32 s76, 2
	s_cbranch_scc1 .LBB23_621
; %bb.616:
	s_add_u32 s26, s34, 0xc4
	s_addc_u32 s27, s35, 0
	s_and_b32 s24, s36, 28
	s_mov_b32 s25, 0
	v_mov_b32_e32 v30, 0
	s_mov_b64 s[30:31], s[34:35]
	v_mov_b32_e32 v0, v1
	v_mov_b32_e32 v28, 0
.LBB23_617:                             ; =>This Inner Loop Header: Depth=1
	s_load_dwordx8 s[12:19], s[30:31], 0x4
	s_load_dwordx4 s[20:23], s[30:31], 0x24
	s_load_dwordx8 s[4:11], s[26:27], 0x0
	s_add_u32 s30, s30, 48
	s_addc_u32 s31, s31, 0
	s_waitcnt lgkmcnt(0)
	v_mul_hi_u32 v3, s13, v0
	v_add_u32_e32 v3, v0, v3
	v_lshrrev_b32_e32 v3, s14, v3
	v_mul_lo_u32 v4, v3, s12
	v_mul_hi_u32 v5, s16, v3
	v_sub_u32_e32 v0, v0, v4
	v_add_u32_e32 v4, v3, v5
	v_lshrrev_b32_e32 v4, s17, v4
	v_mul_lo_u32 v6, v4, s15
	v_mul_hi_u32 v7, s19, v4
	v_sub_u32_e32 v3, v3, v6
	v_add_u32_e32 v6, v4, v7
	v_mul_lo_u32 v5, v0, s5
	v_mul_lo_u32 v0, v0, s4
	;; [unrolled: 1-line block ×4, first 2 shown]
	v_lshrrev_b32_e32 v6, s20, v6
	v_add3_u32 v3, v0, v30, v3
	v_add3_u32 v5, v5, v28, v7
	v_mul_lo_u32 v0, v6, s18
	v_mul_hi_u32 v7, s22, v6
	v_sub_u32_e32 v0, v4, v0
	v_add_u32_e32 v4, v6, v7
	v_mul_lo_u32 v7, v0, s8
	v_mul_lo_u32 v8, v0, s9
	v_lshrrev_b32_e32 v0, s23, v4
	s_add_i32 s25, s25, 4
	v_mul_lo_u32 v4, v0, s21
	s_add_u32 s26, s26, 32
	v_sub_u32_e32 v4, v6, v4
	s_addc_u32 s27, s27, 0
	v_mul_lo_u32 v6, v4, s10
	v_mul_lo_u32 v4, v4, s11
	s_cmp_lg_u32 s24, s25
	v_add3_u32 v28, v8, v5, v4
	v_add3_u32 v30, v7, v3, v6
	s_cbranch_scc1 .LBB23_617
; %bb.618:
	v_mov_b32_e32 v31, v28
	s_and_b32 s8, s36, 3
	s_cmp_eq_u32 s8, 0
	s_cbranch_scc0 .LBB23_622
.LBB23_619:
	s_cbranch_execz .LBB23_625
	s_branch .LBB23_627
.LBB23_620:
                                        ; implicit-def: $vgpr28
                                        ; implicit-def: $vgpr30
	s_branch .LBB23_625
.LBB23_621:
	s_mov_b32 s25, s24
	v_pk_mov_b32 v[30:31], s[24:25], s[24:25] op_sel:[0,1]
                                        ; implicit-def: $vgpr28
	v_mov_b32_e32 v0, v1
	s_and_b32 s8, s36, 3
	s_cmp_eq_u32 s8, 0
	s_cbranch_scc1 .LBB23_619
.LBB23_622:
	s_lshl_b32 s4, s24, 3
	s_add_u32 s4, s4, s34
	s_addc_u32 s5, 0, s35
	s_add_u32 s4, s4, 0xc4
	s_addc_u32 s5, s5, 0
	s_mul_i32 s6, s24, 12
	s_add_u32 s6, s34, s6
	s_addc_u32 s7, 0, s35
.LBB23_623:                             ; =>This Inner Loop Header: Depth=1
	s_load_dwordx2 s[10:11], s[6:7], 0x4
	s_load_dword s9, s[6:7], 0xc
	s_load_dwordx2 s[12:13], s[4:5], 0x0
	s_add_u32 s6, s6, 12
	s_addc_u32 s7, s7, 0
	s_waitcnt lgkmcnt(0)
	v_mul_hi_u32 v3, s11, v0
	v_add_u32_e32 v3, v0, v3
	v_lshrrev_b32_e32 v3, s9, v3
	v_mul_lo_u32 v5, v3, s10
	v_mov_b32_e32 v4, v31
	s_add_u32 s4, s4, 8
	v_sub_u32_e32 v6, v0, v5
	s_addc_u32 s5, s5, 0
	s_add_i32 s8, s8, -1
	v_mad_u64_u32 v[4:5], s[10:11], v6, s13, v[4:5]
	v_mad_u64_u32 v[30:31], s[10:11], v6, s12, v[30:31]
	s_cmp_lg_u32 s8, 0
	v_mov_b32_e32 v0, v3
	v_mov_b32_e32 v31, v4
	s_cbranch_scc1 .LBB23_623
; %bb.624:
	v_mov_b32_e32 v28, v31
	s_cbranch_execnz .LBB23_627
.LBB23_625:
	s_load_dwordx4 s[4:7], s[34:35], 0x4
	s_load_dwordx2 s[8:9], s[34:35], 0xc4
	s_cmp_lt_u32 s33, 2
	s_waitcnt lgkmcnt(0)
	v_mul_hi_u32 v0, s5, v1
	v_add_u32_e32 v0, v1, v0
	v_lshrrev_b32_e32 v0, s6, v0
	v_mul_lo_u32 v3, v0, s4
	v_sub_u32_e32 v1, v1, v3
	v_mul_lo_u32 v28, v1, s9
	v_mul_lo_u32 v30, v1, s8
	s_cbranch_scc1 .LBB23_627
; %bb.626:
	s_load_dwordx4 s[4:7], s[34:35], 0x10
	s_load_dwordx2 s[8:9], s[34:35], 0xcc
	s_waitcnt lgkmcnt(0)
	v_mul_hi_u32 v1, s5, v0
	v_add_u32_e32 v1, v0, v1
	v_lshrrev_b32_e32 v1, s6, v1
	v_mul_lo_u32 v1, v1, s4
	v_sub_u32_e32 v0, v0, v1
	v_mad_u64_u32 v[30:31], s[4:5], v0, s8, v[30:31]
	v_mad_u64_u32 v[28:29], s[4:5], v0, s9, v[28:29]
.LBB23_627:
	s_load_dword s33, s[28:29], 0x160
	s_load_dwordx4 s[36:39], s[34:35], 0x148
	s_getpc_b64 s[28:29]
	s_add_u32 s28, s28, _ZN2at6native6invokeIZZZNS0_12_GLOBAL__N_130modified_bessel_k0_kernel_cudaERNS_18TensorIteratorBaseEENKUlvE_clEvENKUlvE0_clEvEUlfE_j15function_traitsIS7_EEENT1_11result_typeERKT_PrKPcPKT0_PKN3c1010ScalarTypeEi@rel32@lo+4
	s_addc_u32 s29, s29, _ZN2at6native6invokeIZZZNS0_12_GLOBAL__N_130modified_bessel_k0_kernel_cudaERNS_18TensorIteratorBaseEENKUlvE_clEvENKUlvE0_clEvEUlfE_j15function_traitsIS7_EEENT1_11result_typeERKT_PrKPcPKT0_PKN3c1010ScalarTypeEi@rel32@hi+12
	s_waitcnt lgkmcnt(0)
	s_lshr_b32 s34, s33, 16
	v_mov_b32_e32 v0, s38
	v_mov_b32_e32 v1, s39
	v_mov_b32_e32 v3, s34
	s_swappc_b64 s[30:31], s[28:29]
	v_mov_b32_e32 v24, v0
	v_mov_b32_e32 v0, s38
	v_mov_b32_e32 v1, s39
	v_mov_b32_e32 v2, v20
	v_mov_b32_e32 v3, s34
	s_swappc_b64 s[30:31], s[28:29]
	v_mov_b32_e32 v22, v0
	v_mov_b32_e32 v0, s38
	;; [unrolled: 6-line block ×3, first 2 shown]
	v_mov_b32_e32 v1, s39
	v_mov_b32_e32 v2, v28
	;; [unrolled: 1-line block ×3, first 2 shown]
	s_swappc_b64 s[30:31], s[28:29]
	v_mov_b32_e32 v1, s37
	v_add_co_u32_e32 v2, vcc, s36, v36
	v_addc_co_u32_e32 v3, vcc, 0, v1, vcc
	s_lshr_b32 s16, s33, 8
	v_mov_b32_e32 v1, 11
	v_cmp_lt_i16_sdwa s[4:5], s16, v1 src0_sel:BYTE_0 src1_sel:DWORD
	s_and_b64 vcc, exec, s[4:5]
	s_cbranch_vccnz .LBB23_634
; %bb.628:
	v_mov_b32_e32 v1, 25
	v_cmp_gt_i16_sdwa s[4:5], s16, v1 src0_sel:BYTE_0 src1_sel:DWORD
	s_mov_b64 s[6:7], -1
	s_mov_b64 s[8:9], 0
	s_and_b64 vcc, exec, s[4:5]
	s_mov_b64 s[10:11], 0
	s_mov_b64 s[4:5], 0
	s_cbranch_vccz .LBB23_665
; %bb.629:
	v_mov_b32_e32 v1, 28
	v_cmp_gt_i16_sdwa s[4:5], s16, v1 src0_sel:BYTE_0 src1_sel:DWORD
	s_and_b64 vcc, exec, s[4:5]
	s_cbranch_vccz .LBB23_636
; %bb.630:
	v_mov_b32_e32 v1, 43
	v_cmp_gt_i16_sdwa s[4:5], s16, v1 src0_sel:BYTE_0 src1_sel:DWORD
	s_and_b64 vcc, exec, s[4:5]
	s_cbranch_vccz .LBB23_637
; %bb.631:
	v_mov_b32_e32 v1, 45
	v_cmp_gt_i16_sdwa s[4:5], s16, v1 src0_sel:BYTE_0 src1_sel:DWORD
	s_and_b64 vcc, exec, s[4:5]
	s_cbranch_vccz .LBB23_638
; %bb.632:
	v_mov_b32_e32 v1, 46
	v_cmp_eq_u16_sdwa s[10:11], s16, v1 src0_sel:BYTE_0 src1_sel:DWORD
	s_mov_b64 s[4:5], -1
	s_mov_b64 s[6:7], 0
	s_and_b64 vcc, exec, s[10:11]
	s_mov_b64 s[10:11], 0
	s_cbranch_vccz .LBB23_639
; %bb.633:
	v_bfe_u32 v1, v24, 16, 1
	s_movk_i32 s4, 0x7fff
	v_add3_u32 v1, v24, v1, s4
	v_lshrrev_b32_e32 v1, 16, v1
	v_mov_b32_e32 v4, 0x7fc0
	v_cmp_o_f32_e32 vcc, v24, v24
	v_cndmask_b32_e32 v1, v4, v1, vcc
	global_store_dword v[2:3], v1, off
	s_mov_b64 s[4:5], 0
	s_mov_b64 s[10:11], -1
	s_branch .LBB23_639
.LBB23_634:
	s_mov_b64 s[10:11], 0
	s_mov_b64 s[6:7], s[40:41]
	s_cbranch_execnz .LBB23_709
.LBB23_635:
	s_andn2_b64 vcc, exec, s[10:11]
	s_cbranch_vccz .LBB23_747
	s_branch .LBB23_1076
.LBB23_636:
	s_mov_b64 s[4:5], 0
	s_branch .LBB23_648
.LBB23_637:
	s_mov_b64 s[4:5], 0
	s_and_b64 vcc, exec, s[6:7]
	s_cbranch_vccnz .LBB23_645
	s_branch .LBB23_647
.LBB23_638:
	s_mov_b64 s[4:5], 0
.LBB23_639:
	s_and_b64 vcc, exec, s[6:7]
	s_cbranch_vccz .LBB23_644
; %bb.640:
	v_mov_b32_e32 v1, 44
	v_cmp_eq_u16_sdwa s[6:7], s16, v1 src0_sel:BYTE_0 src1_sel:DWORD
	s_mov_b64 s[4:5], -1
	s_and_b64 vcc, exec, s[6:7]
	s_cbranch_vccz .LBB23_644
; %bb.641:
	v_bfe_u32 v1, v24, 23, 8
	s_movk_i32 s4, 0xff
	v_cmp_ne_u32_e32 vcc, s4, v1
	v_mov_b32_e32 v4, 0xff
	s_and_saveexec_b64 s[6:7], vcc
; %bb.642:
	s_mov_b32 s4, 0x3fffff
	v_and_b32_e32 v5, 0x400000, v24
	v_and_or_b32 v1, v24, s4, v1
	v_cmp_ne_u32_e32 vcc, 0, v5
	v_cmp_ne_u32_e64 s[4:5], 0, v1
	s_and_b64 s[4:5], vcc, s[4:5]
	v_lshrrev_b32_e32 v4, 23, v24
	v_cndmask_b32_e64 v1, 0, 1, s[4:5]
	v_add_u32_e32 v4, v4, v1
; %bb.643:
	s_or_b64 exec, exec, s[6:7]
	s_mov_b64 s[4:5], 0
	s_mov_b64 s[10:11], -1
	global_store_byte v[2:3], v4, off
.LBB23_644:
	s_branch .LBB23_647
.LBB23_645:
	v_mov_b32_e32 v1, 29
	v_cmp_eq_u16_sdwa s[6:7], s16, v1 src0_sel:BYTE_0 src1_sel:DWORD
	s_mov_b64 s[4:5], -1
	s_and_b64 vcc, exec, s[6:7]
	s_cbranch_vccz .LBB23_647
; %bb.646:
	v_trunc_f32_e32 v1, v24
	v_mul_f32_e32 v4, 0x2f800000, v1
	v_floor_f32_e32 v4, v4
	v_fmac_f32_e32 v1, 0xcf800000, v4
	v_cvt_u32_f32_e32 v5, v4
	v_cvt_u32_f32_e32 v4, v1
	s_mov_b64 s[4:5], 0
	s_mov_b64 s[10:11], -1
	s_mov_b64 s[6:7], 0
	global_store_dwordx2 v[2:3], v[4:5], off
	s_branch .LBB23_648
.LBB23_647:
	s_mov_b64 s[6:7], 0
.LBB23_648:
	s_and_b64 vcc, exec, s[6:7]
	s_cbranch_vccz .LBB23_664
; %bb.649:
	v_mov_b32_e32 v1, 27
	v_cmp_lt_i16_sdwa s[10:11], s16, v1 src0_sel:BYTE_0 src1_sel:DWORD
	s_mov_b64 s[6:7], -1
	s_and_b64 vcc, exec, s[10:11]
	s_cbranch_vccnz .LBB23_655
; %bb.650:
	v_cmp_gt_i16_sdwa s[10:11], s16, v1 src0_sel:BYTE_0 src1_sel:DWORD
	s_and_b64 vcc, exec, s[10:11]
	s_cbranch_vccz .LBB23_652
; %bb.651:
	v_cvt_u32_f32_e32 v1, v24
	s_mov_b64 s[6:7], 0
	global_store_dword v[2:3], v1, off
.LBB23_652:
	s_andn2_b64 vcc, exec, s[6:7]
	s_cbranch_vccnz .LBB23_654
; %bb.653:
	v_cvt_u32_f32_e32 v1, v24
	global_store_short v[2:3], v1, off
.LBB23_654:
	s_mov_b64 s[6:7], 0
.LBB23_655:
	s_andn2_b64 vcc, exec, s[6:7]
	s_cbranch_vccnz .LBB23_663
; %bb.656:
	v_and_b32_e32 v1, 0x7fffffff, v24
	s_mov_b32 s6, 0x43800000
	v_cmp_gt_u32_e32 vcc, s6, v1
	v_mov_b32_e32 v4, 0x80
	s_and_saveexec_b64 s[6:7], vcc
	s_cbranch_execz .LBB23_662
; %bb.657:
	s_mov_b32 s10, 0x3bffffff
	v_cmp_lt_u32_e32 vcc, s10, v1
	s_mov_b64 s[10:11], 0
                                        ; implicit-def: $vgpr1
	s_and_saveexec_b64 s[12:13], vcc
	s_xor_b64 s[12:13], exec, s[12:13]
	s_cbranch_execz .LBB23_757
; %bb.658:
	v_bfe_u32 v1, v24, 20, 1
	s_mov_b32 s14, 0x487ffff
	v_add3_u32 v1, v24, v1, s14
	s_mov_b64 s[10:11], exec
	v_lshrrev_b32_e32 v1, 20, v1
	s_or_saveexec_b64 s[12:13], s[12:13]
                                        ; implicit-def: $sgpr14
	s_xor_b64 exec, exec, s[12:13]
	s_cbranch_execnz .LBB23_758
.LBB23_659:
	s_or_b64 exec, exec, s[12:13]
	v_mov_b32_e32 v4, s14
	s_and_saveexec_b64 s[12:13], s[10:11]
.LBB23_660:
	v_lshrrev_b32_e32 v4, 24, v24
	s_movk_i32 s10, 0x80
	v_and_or_b32 v4, v4, s10, v1
.LBB23_661:
	s_or_b64 exec, exec, s[12:13]
.LBB23_662:
	s_or_b64 exec, exec, s[6:7]
	global_store_byte v[2:3], v4, off
.LBB23_663:
	s_mov_b64 s[10:11], -1
.LBB23_664:
	s_mov_b64 s[6:7], 0
.LBB23_665:
	s_and_b64 vcc, exec, s[6:7]
	s_cbranch_vccz .LBB23_705
; %bb.666:
	v_mov_b32_e32 v1, 22
	v_cmp_gt_i16_sdwa s[8:9], s16, v1 src0_sel:BYTE_0 src1_sel:DWORD
	s_mov_b64 s[6:7], -1
	s_and_b64 vcc, exec, s[8:9]
	s_cbranch_vccz .LBB23_698
; %bb.667:
	v_mov_b32_e32 v1, 24
	v_cmp_lt_i16_sdwa s[8:9], s16, v1 src0_sel:BYTE_0 src1_sel:DWORD
	s_and_b64 vcc, exec, s[8:9]
	s_cbranch_vccnz .LBB23_687
; %bb.668:
	v_cmp_gt_i16_sdwa s[8:9], s16, v1 src0_sel:BYTE_0 src1_sel:DWORD
	s_and_b64 vcc, exec, s[8:9]
	s_cbranch_vccz .LBB23_676
; %bb.669:
	v_and_b32_e32 v1, 0x7fffffff, v24
	s_mov_b32 s6, 0x47800000
	v_cmp_gt_u32_e32 vcc, s6, v1
	v_mov_b32_e32 v4, 0x80
	s_and_saveexec_b64 s[6:7], vcc
	s_cbranch_execz .LBB23_675
; %bb.670:
	s_mov_b32 s8, 0x37ffffff
	v_cmp_lt_u32_e32 vcc, s8, v1
	s_mov_b64 s[8:9], 0
                                        ; implicit-def: $vgpr1
	s_and_saveexec_b64 s[10:11], vcc
	s_xor_b64 s[10:11], exec, s[10:11]
	s_cbranch_execz .LBB23_761
; %bb.671:
	v_bfe_u32 v1, v24, 21, 1
	s_mov_b32 s12, 0x88fffff
	v_add3_u32 v1, v24, v1, s12
	s_mov_b64 s[8:9], exec
	v_lshrrev_b32_e32 v1, 21, v1
	s_or_saveexec_b64 s[10:11], s[10:11]
                                        ; implicit-def: $sgpr12
	s_xor_b64 exec, exec, s[10:11]
	s_cbranch_execnz .LBB23_762
.LBB23_672:
	s_or_b64 exec, exec, s[10:11]
	v_mov_b32_e32 v4, s12
	s_and_saveexec_b64 s[10:11], s[8:9]
.LBB23_673:
	v_lshrrev_b32_e32 v4, 24, v24
	s_movk_i32 s8, 0x80
	v_and_or_b32 v4, v4, s8, v1
.LBB23_674:
	s_or_b64 exec, exec, s[10:11]
.LBB23_675:
	s_or_b64 exec, exec, s[6:7]
	s_mov_b64 s[6:7], 0
	global_store_byte v[2:3], v4, off
.LBB23_676:
	s_and_b64 vcc, exec, s[6:7]
	s_cbranch_vccz .LBB23_686
; %bb.677:
	v_and_b32_e32 v4, 0x7fffffff, v24
	s_mov_b32 s6, 0x43f00000
	v_cmp_gt_u32_e32 vcc, s6, v4
                                        ; implicit-def: $vgpr1
	s_and_saveexec_b64 s[6:7], vcc
	s_xor_b64 s[6:7], exec, s[6:7]
	s_cbranch_execz .LBB23_683
; %bb.678:
	s_mov_b32 s8, 0x3c7fffff
	v_cmp_lt_u32_e32 vcc, s8, v4
                                        ; implicit-def: $vgpr1
	s_and_saveexec_b64 s[8:9], vcc
	s_xor_b64 s[8:9], exec, s[8:9]
; %bb.679:
	v_bfe_u32 v1, v24, 20, 1
	s_mov_b32 s10, 0x407ffff
	v_add3_u32 v1, v24, v1, s10
	v_lshrrev_b32_e32 v4, 20, v1
	v_and_b32_e32 v1, 0xff00000, v1
	s_mov_b32 s10, 0x7f00000
	v_mov_b32_e32 v5, 0x7e
	v_cmp_ne_u32_e32 vcc, s10, v1
	v_cndmask_b32_e32 v1, v5, v4, vcc
; %bb.680:
	s_andn2_saveexec_b64 s[8:9], s[8:9]
; %bb.681:
	s_mov_b32 s10, 0x46800000
	v_add_f32_e64 v1, |v24|, s10
; %bb.682:
	s_or_b64 exec, exec, s[8:9]
                                        ; implicit-def: $vgpr4
.LBB23_683:
	s_andn2_saveexec_b64 s[6:7], s[6:7]
; %bb.684:
	s_mov_b32 s8, 0x7f800000
	v_mov_b32_e32 v1, 0x7e
	v_mov_b32_e32 v5, 0x7f
	v_cmp_lt_u32_e32 vcc, s8, v4
	v_cndmask_b32_e32 v1, v1, v5, vcc
; %bb.685:
	s_or_b64 exec, exec, s[6:7]
	v_lshrrev_b32_e32 v4, 24, v24
	s_movk_i32 s6, 0x80
	v_and_or_b32 v1, v4, s6, v1
	global_store_byte v[2:3], v1, off
.LBB23_686:
	s_mov_b64 s[6:7], 0
.LBB23_687:
	s_andn2_b64 vcc, exec, s[6:7]
	s_cbranch_vccnz .LBB23_697
; %bb.688:
	v_and_b32_e32 v4, 0x7fffffff, v24
	s_mov_b32 s6, 0x47800000
	v_cmp_gt_u32_e32 vcc, s6, v4
                                        ; implicit-def: $vgpr1
	s_and_saveexec_b64 s[6:7], vcc
	s_xor_b64 s[6:7], exec, s[6:7]
	s_cbranch_execz .LBB23_694
; %bb.689:
	s_mov_b32 s8, 0x387fffff
	v_cmp_lt_u32_e32 vcc, s8, v4
                                        ; implicit-def: $vgpr1
	s_and_saveexec_b64 s[8:9], vcc
	s_xor_b64 s[8:9], exec, s[8:9]
; %bb.690:
	v_bfe_u32 v1, v24, 21, 1
	s_mov_b32 s10, 0x80fffff
	v_add3_u32 v1, v24, v1, s10
	v_lshrrev_b32_e32 v1, 21, v1
; %bb.691:
	s_andn2_saveexec_b64 s[8:9], s[8:9]
; %bb.692:
	s_mov_b32 s10, 0x43000000
	v_add_f32_e64 v1, |v24|, s10
; %bb.693:
	s_or_b64 exec, exec, s[8:9]
                                        ; implicit-def: $vgpr4
.LBB23_694:
	s_andn2_saveexec_b64 s[6:7], s[6:7]
; %bb.695:
	s_mov_b32 s8, 0x7f800000
	v_mov_b32_e32 v1, 0x7c
	v_mov_b32_e32 v5, 0x7f
	v_cmp_lt_u32_e32 vcc, s8, v4
	v_cndmask_b32_e32 v1, v1, v5, vcc
; %bb.696:
	s_or_b64 exec, exec, s[6:7]
	v_lshrrev_b32_e32 v4, 24, v24
	s_movk_i32 s6, 0x80
	v_and_or_b32 v1, v4, s6, v1
	global_store_byte v[2:3], v1, off
.LBB23_697:
	s_mov_b64 s[6:7], 0
	s_mov_b64 s[10:11], -1
.LBB23_698:
	s_andn2_b64 vcc, exec, s[6:7]
	s_mov_b64 s[8:9], 0
	s_cbranch_vccnz .LBB23_705
; %bb.699:
	v_mov_b32_e32 v1, 14
	v_cmp_gt_i16_sdwa s[8:9], s16, v1 src0_sel:BYTE_0 src1_sel:DWORD
	s_mov_b64 s[6:7], -1
	s_and_b64 vcc, exec, s[8:9]
	s_cbranch_vccz .LBB23_703
; %bb.700:
	v_mov_b32_e32 v1, 15
	v_cmp_eq_u16_sdwa s[6:7], s16, v1 src0_sel:BYTE_0 src1_sel:DWORD
	s_mov_b64 s[4:5], -1
	s_and_b64 vcc, exec, s[6:7]
	s_cbranch_vccz .LBB23_702
; %bb.701:
	v_bfe_u32 v1, v24, 16, 1
	s_movk_i32 s4, 0x7fff
	v_add3_u32 v1, v24, v1, s4
	v_lshrrev_b32_e32 v1, 16, v1
	v_mov_b32_e32 v4, 0x7fc0
	v_cmp_o_f32_e32 vcc, v24, v24
	v_cndmask_b32_e32 v1, v4, v1, vcc
	global_store_short v[2:3], v1, off
	s_mov_b64 s[4:5], 0
	s_mov_b64 s[10:11], -1
.LBB23_702:
	s_mov_b64 s[6:7], 0
.LBB23_703:
	s_mov_b64 s[8:9], 0
	s_and_b64 vcc, exec, s[6:7]
	s_cbranch_vccz .LBB23_705
; %bb.704:
	v_mov_b32_e32 v1, 11
	v_cmp_ne_u16_sdwa s[4:5], s16, v1 src0_sel:BYTE_0 src1_sel:DWORD
	s_mov_b64 s[8:9], -1
.LBB23_705:
	s_and_b64 vcc, exec, s[4:5]
	s_mov_b64 s[6:7], s[40:41]
	s_cbranch_vccnz .LBB23_760
; %bb.706:
	s_andn2_b64 vcc, exec, s[8:9]
	s_cbranch_vccnz .LBB23_708
.LBB23_707:
	v_cmp_neq_f32_e32 vcc, 0, v24
	v_cndmask_b32_e64 v1, 0, 1, vcc
	global_store_byte v[2:3], v1, off
	s_mov_b64 s[10:11], -1
.LBB23_708:
	s_branch .LBB23_635
.LBB23_709:
	v_mov_b32_e32 v1, 5
	v_cmp_lt_i16_sdwa s[8:9], s16, v1 src0_sel:BYTE_0 src1_sel:DWORD
	s_mov_b64 s[4:5], -1
	s_and_b64 vcc, exec, s[8:9]
	s_cbranch_vccnz .LBB23_730
; %bb.710:
	v_mov_b32_e32 v1, 8
	v_cmp_lt_i16_sdwa s[8:9], s16, v1 src0_sel:BYTE_0 src1_sel:DWORD
	s_and_b64 vcc, exec, s[8:9]
	s_cbranch_vccnz .LBB23_720
; %bb.711:
	v_mov_b32_e32 v1, 9
	v_cmp_lt_i16_sdwa s[8:9], s16, v1 src0_sel:BYTE_0 src1_sel:DWORD
	s_and_b64 vcc, exec, s[8:9]
	s_cbranch_vccnz .LBB23_717
; %bb.712:
	v_cmp_gt_i16_sdwa s[8:9], s16, v1 src0_sel:BYTE_0 src1_sel:DWORD
	s_and_b64 vcc, exec, s[8:9]
	s_cbranch_vccz .LBB23_714
; %bb.713:
	v_mov_b32_e32 v6, 0
	v_cvt_f64_f32_e32 v[4:5], v24
	v_mov_b32_e32 v7, v6
	global_store_dwordx4 v[2:3], v[4:7], off
	s_mov_b64 s[4:5], 0
.LBB23_714:
	s_andn2_b64 vcc, exec, s[4:5]
	s_cbranch_vccnz .LBB23_716
; %bb.715:
	v_mov_b32_e32 v25, 0
	global_store_dwordx2 v[2:3], v[24:25], off
.LBB23_716:
	s_mov_b64 s[4:5], 0
.LBB23_717:
	s_andn2_b64 vcc, exec, s[4:5]
	s_cbranch_vccnz .LBB23_719
; %bb.718:
	v_cvt_f16_f32_e32 v1, v24
	global_store_dword v[2:3], v1, off
.LBB23_719:
	s_mov_b64 s[4:5], 0
.LBB23_720:
	s_andn2_b64 vcc, exec, s[4:5]
	s_cbranch_vccnz .LBB23_729
; %bb.721:
	v_mov_b32_e32 v1, 6
	v_cmp_lt_i16_sdwa s[8:9], s16, v1 src0_sel:BYTE_0 src1_sel:DWORD
	s_mov_b64 s[4:5], -1
	s_and_b64 vcc, exec, s[8:9]
	s_cbranch_vccnz .LBB23_727
; %bb.722:
	v_cmp_gt_i16_sdwa s[8:9], s16, v1 src0_sel:BYTE_0 src1_sel:DWORD
	s_and_b64 vcc, exec, s[8:9]
	s_cbranch_vccz .LBB23_724
; %bb.723:
	v_cvt_f64_f32_e32 v[4:5], v24
	global_store_dwordx2 v[2:3], v[4:5], off
	s_mov_b64 s[4:5], 0
.LBB23_724:
	s_andn2_b64 vcc, exec, s[4:5]
	s_cbranch_vccnz .LBB23_726
; %bb.725:
	global_store_dword v[2:3], v24, off
.LBB23_726:
	s_mov_b64 s[4:5], 0
.LBB23_727:
	s_andn2_b64 vcc, exec, s[4:5]
	s_cbranch_vccnz .LBB23_729
; %bb.728:
	v_cvt_f16_f32_e32 v1, v24
	global_store_short v[2:3], v1, off
.LBB23_729:
	s_mov_b64 s[4:5], 0
.LBB23_730:
	s_andn2_b64 vcc, exec, s[4:5]
	s_cbranch_vccnz .LBB23_746
; %bb.731:
	v_mov_b32_e32 v1, 2
	v_cmp_lt_i16_sdwa s[8:9], s16, v1 src0_sel:BYTE_0 src1_sel:DWORD
	s_mov_b64 s[4:5], -1
	s_and_b64 vcc, exec, s[8:9]
	s_cbranch_vccnz .LBB23_741
; %bb.732:
	v_mov_b32_e32 v1, 3
	v_cmp_lt_i16_sdwa s[8:9], s16, v1 src0_sel:BYTE_0 src1_sel:DWORD
	s_and_b64 vcc, exec, s[8:9]
	s_cbranch_vccnz .LBB23_738
; %bb.733:
	v_cmp_gt_i16_sdwa s[8:9], s16, v1 src0_sel:BYTE_0 src1_sel:DWORD
	s_and_b64 vcc, exec, s[8:9]
	s_cbranch_vccz .LBB23_735
; %bb.734:
	v_trunc_f32_e32 v1, v24
	s_mov_b32 s4, 0x2f800000
	v_mul_f32_e64 v4, |v1|, s4
	v_floor_f32_e32 v4, v4
	s_mov_b32 s4, 0xcf800000
	v_cvt_u32_f32_e32 v5, v4
	v_fma_f32 v4, v4, s4, |v1|
	v_cvt_u32_f32_e32 v4, v4
	v_ashrrev_i32_e32 v1, 31, v1
	v_xor_b32_e32 v5, v5, v1
	s_mov_b64 s[4:5], 0
	v_xor_b32_e32 v4, v4, v1
	v_sub_co_u32_e32 v4, vcc, v4, v1
	v_subb_co_u32_e32 v5, vcc, v5, v1, vcc
	global_store_dwordx2 v[2:3], v[4:5], off
.LBB23_735:
	s_andn2_b64 vcc, exec, s[4:5]
	s_cbranch_vccnz .LBB23_737
; %bb.736:
	v_cvt_i32_f32_e32 v1, v24
	global_store_dword v[2:3], v1, off
.LBB23_737:
	s_mov_b64 s[4:5], 0
.LBB23_738:
	s_andn2_b64 vcc, exec, s[4:5]
	s_cbranch_vccnz .LBB23_740
; %bb.739:
	v_cvt_i32_f32_e32 v1, v24
	global_store_short v[2:3], v1, off
.LBB23_740:
	s_mov_b64 s[4:5], 0
.LBB23_741:
	s_andn2_b64 vcc, exec, s[4:5]
	s_cbranch_vccnz .LBB23_746
; %bb.742:
	v_mov_b32_e32 v1, 0
	v_cmp_gt_i16_sdwa s[8:9], s16, v1 src0_sel:BYTE_0 src1_sel:DWORD
	s_mov_b64 s[4:5], -1
	s_and_b64 vcc, exec, s[8:9]
	s_cbranch_vccz .LBB23_744
; %bb.743:
	v_cvt_i32_f32_e32 v1, v24
	s_mov_b64 s[4:5], 0
	global_store_byte v[2:3], v1, off
.LBB23_744:
	s_andn2_b64 vcc, exec, s[4:5]
	s_cbranch_vccnz .LBB23_746
; %bb.745:
	v_trunc_f32_e32 v1, v24
	s_mov_b32 s4, 0x2f800000
	v_mul_f32_e64 v4, |v1|, s4
	v_floor_f32_e32 v4, v4
	s_mov_b32 s4, 0xcf800000
	v_fma_f32 v4, v4, s4, |v1|
	v_cvt_u32_f32_e32 v4, v4
	v_ashrrev_i32_e32 v1, 31, v1
	v_xor_b32_e32 v4, v4, v1
	v_sub_u32_e32 v1, v4, v1
	global_store_byte v[2:3], v1, off
.LBB23_746:
.LBB23_747:
	v_mov_b32_e32 v1, s37
	v_add_co_u32_e32 v2, vcc, s36, v34
	v_addc_co_u32_e32 v3, vcc, 0, v1, vcc
	v_mov_b32_e32 v1, 11
	v_cmp_lt_i16_sdwa s[4:5], s16, v1 src0_sel:BYTE_0 src1_sel:DWORD
	s_and_b64 vcc, exec, s[4:5]
	s_cbranch_vccnz .LBB23_754
; %bb.748:
	v_mov_b32_e32 v1, 25
	v_cmp_gt_i16_sdwa s[4:5], s16, v1 src0_sel:BYTE_0 src1_sel:DWORD
	s_mov_b64 s[12:13], -1
	s_mov_b64 s[8:9], 0
	s_and_b64 vcc, exec, s[4:5]
	s_mov_b64 s[10:11], 0
	s_mov_b64 s[4:5], 0
	s_cbranch_vccz .LBB23_791
; %bb.749:
	v_mov_b32_e32 v1, 28
	v_cmp_gt_i16_sdwa s[4:5], s16, v1 src0_sel:BYTE_0 src1_sel:DWORD
	s_and_b64 vcc, exec, s[4:5]
	s_cbranch_vccz .LBB23_756
; %bb.750:
	v_mov_b32_e32 v1, 43
	v_cmp_gt_i16_sdwa s[4:5], s16, v1 src0_sel:BYTE_0 src1_sel:DWORD
	s_and_b64 vcc, exec, s[4:5]
	;; [unrolled: 5-line block ×3, first 2 shown]
	s_cbranch_vccz .LBB23_763
; %bb.752:
	v_mov_b32_e32 v1, 46
	v_cmp_eq_u16_sdwa s[10:11], s16, v1 src0_sel:BYTE_0 src1_sel:DWORD
	s_mov_b64 s[4:5], -1
	s_mov_b64 s[12:13], 0
	s_and_b64 vcc, exec, s[10:11]
	s_mov_b64 s[10:11], 0
	s_cbranch_vccz .LBB23_764
; %bb.753:
	v_bfe_u32 v1, v22, 16, 1
	s_movk_i32 s4, 0x7fff
	v_add3_u32 v1, v22, v1, s4
	v_lshrrev_b32_e32 v1, 16, v1
	v_mov_b32_e32 v4, 0x7fc0
	v_cmp_o_f32_e32 vcc, v22, v22
	v_cndmask_b32_e32 v1, v4, v1, vcc
	global_store_dword v[2:3], v1, off
	s_mov_b64 s[4:5], 0
	s_mov_b64 s[10:11], -1
	s_branch .LBB23_764
.LBB23_754:
	s_mov_b64 s[10:11], 0
	s_cbranch_execnz .LBB23_835
.LBB23_755:
	s_andn2_b64 vcc, exec, s[10:11]
	s_cbranch_vccz .LBB23_873
	s_branch .LBB23_1076
.LBB23_756:
	s_mov_b64 s[4:5], 0
	s_branch .LBB23_774
.LBB23_757:
	s_or_saveexec_b64 s[12:13], s[12:13]
                                        ; implicit-def: $sgpr14
	s_xor_b64 exec, exec, s[12:13]
	s_cbranch_execz .LBB23_659
.LBB23_758:
	s_mov_b32 s14, 0x46000000
	v_add_f32_e64 v1, |v24|, s14
	v_and_b32_e32 v1, 0xff, v1
	v_cmp_ne_u32_e32 vcc, 0, v1
	s_andn2_b64 s[10:11], s[10:11], exec
	s_and_b64 s[18:19], vcc, exec
	s_mov_b32 s14, 0
	s_or_b64 s[10:11], s[10:11], s[18:19]
	s_or_b64 exec, exec, s[12:13]
	v_mov_b32_e32 v4, s14
	s_and_saveexec_b64 s[12:13], s[10:11]
	s_cbranch_execnz .LBB23_660
	s_branch .LBB23_661
.LBB23_759:
	s_mov_b64 s[4:5], 0
	s_branch .LBB23_770
.LBB23_760:
	s_or_b64 s[6:7], s[40:41], exec
	s_trap 2
	s_cbranch_execz .LBB23_707
	s_branch .LBB23_708
.LBB23_761:
	s_or_saveexec_b64 s[10:11], s[10:11]
                                        ; implicit-def: $sgpr12
	s_xor_b64 exec, exec, s[10:11]
	s_cbranch_execz .LBB23_672
.LBB23_762:
	s_mov_b32 s12, 0x42800000
	v_add_f32_e64 v1, |v24|, s12
	v_and_b32_e32 v1, 0xff, v1
	v_cmp_ne_u32_e32 vcc, 0, v1
	s_andn2_b64 s[8:9], s[8:9], exec
	s_and_b64 s[14:15], vcc, exec
	s_mov_b32 s12, 0
	s_or_b64 s[8:9], s[8:9], s[14:15]
	s_or_b64 exec, exec, s[10:11]
	v_mov_b32_e32 v4, s12
	s_and_saveexec_b64 s[10:11], s[8:9]
	s_cbranch_execnz .LBB23_673
	s_branch .LBB23_674
.LBB23_763:
	s_mov_b64 s[4:5], 0
.LBB23_764:
	s_and_b64 vcc, exec, s[12:13]
	s_cbranch_vccz .LBB23_769
; %bb.765:
	v_mov_b32_e32 v1, 44
	v_cmp_eq_u16_sdwa s[12:13], s16, v1 src0_sel:BYTE_0 src1_sel:DWORD
	s_mov_b64 s[4:5], -1
	s_and_b64 vcc, exec, s[12:13]
	s_cbranch_vccz .LBB23_769
; %bb.766:
	v_bfe_u32 v1, v22, 23, 8
	s_movk_i32 s4, 0xff
	v_cmp_ne_u32_e32 vcc, s4, v1
	v_mov_b32_e32 v4, 0xff
	s_and_saveexec_b64 s[10:11], vcc
; %bb.767:
	s_mov_b32 s4, 0x3fffff
	v_and_b32_e32 v5, 0x400000, v22
	v_and_or_b32 v1, v22, s4, v1
	v_cmp_ne_u32_e32 vcc, 0, v5
	v_cmp_ne_u32_e64 s[4:5], 0, v1
	s_and_b64 s[4:5], vcc, s[4:5]
	v_lshrrev_b32_e32 v4, 23, v22
	v_cndmask_b32_e64 v1, 0, 1, s[4:5]
	v_add_u32_e32 v4, v4, v1
; %bb.768:
	s_or_b64 exec, exec, s[10:11]
	s_mov_b64 s[4:5], 0
	s_mov_b64 s[10:11], -1
	global_store_byte v[2:3], v4, off
.LBB23_769:
	s_mov_b64 s[12:13], 0
.LBB23_770:
	s_and_b64 vcc, exec, s[12:13]
	s_cbranch_vccz .LBB23_773
; %bb.771:
	v_mov_b32_e32 v1, 29
	v_cmp_eq_u16_sdwa s[12:13], s16, v1 src0_sel:BYTE_0 src1_sel:DWORD
	s_mov_b64 s[4:5], -1
	s_and_b64 vcc, exec, s[12:13]
	s_cbranch_vccz .LBB23_773
; %bb.772:
	v_trunc_f32_e32 v1, v22
	v_mul_f32_e32 v4, 0x2f800000, v1
	v_floor_f32_e32 v4, v4
	v_fmac_f32_e32 v1, 0xcf800000, v4
	v_cvt_u32_f32_e32 v5, v4
	v_cvt_u32_f32_e32 v4, v1
	s_mov_b64 s[4:5], 0
	s_mov_b64 s[10:11], -1
	s_mov_b64 s[12:13], 0
	global_store_dwordx2 v[2:3], v[4:5], off
	s_branch .LBB23_774
.LBB23_773:
	s_mov_b64 s[12:13], 0
.LBB23_774:
	s_and_b64 vcc, exec, s[12:13]
	s_cbranch_vccz .LBB23_790
; %bb.775:
	v_mov_b32_e32 v1, 27
	v_cmp_lt_i16_sdwa s[12:13], s16, v1 src0_sel:BYTE_0 src1_sel:DWORD
	s_mov_b64 s[10:11], -1
	s_and_b64 vcc, exec, s[12:13]
	s_cbranch_vccnz .LBB23_781
; %bb.776:
	v_cmp_gt_i16_sdwa s[12:13], s16, v1 src0_sel:BYTE_0 src1_sel:DWORD
	s_and_b64 vcc, exec, s[12:13]
	s_cbranch_vccz .LBB23_778
; %bb.777:
	v_cvt_u32_f32_e32 v1, v22
	s_mov_b64 s[10:11], 0
	global_store_dword v[2:3], v1, off
.LBB23_778:
	s_andn2_b64 vcc, exec, s[10:11]
	s_cbranch_vccnz .LBB23_780
; %bb.779:
	v_cvt_u32_f32_e32 v1, v22
	global_store_short v[2:3], v1, off
.LBB23_780:
	s_mov_b64 s[10:11], 0
.LBB23_781:
	s_andn2_b64 vcc, exec, s[10:11]
	s_cbranch_vccnz .LBB23_789
; %bb.782:
	v_and_b32_e32 v1, 0x7fffffff, v22
	s_mov_b32 s10, 0x43800000
	v_cmp_gt_u32_e32 vcc, s10, v1
	v_mov_b32_e32 v4, 0x80
	s_and_saveexec_b64 s[10:11], vcc
	s_cbranch_execz .LBB23_788
; %bb.783:
	s_mov_b32 s12, 0x3bffffff
	v_cmp_lt_u32_e32 vcc, s12, v1
	s_mov_b64 s[12:13], 0
                                        ; implicit-def: $vgpr1
	s_and_saveexec_b64 s[14:15], vcc
	s_xor_b64 s[14:15], exec, s[14:15]
	s_cbranch_execz .LBB23_960
; %bb.784:
	v_bfe_u32 v1, v22, 20, 1
	s_mov_b32 s17, 0x487ffff
	v_add3_u32 v1, v22, v1, s17
	s_mov_b64 s[12:13], exec
	v_lshrrev_b32_e32 v1, 20, v1
	s_or_saveexec_b64 s[14:15], s[14:15]
                                        ; implicit-def: $sgpr17
	s_xor_b64 exec, exec, s[14:15]
	s_cbranch_execnz .LBB23_961
.LBB23_785:
	s_or_b64 exec, exec, s[14:15]
	v_mov_b32_e32 v4, s17
	s_and_saveexec_b64 s[14:15], s[12:13]
.LBB23_786:
	v_lshrrev_b32_e32 v4, 24, v22
	s_movk_i32 s12, 0x80
	v_and_or_b32 v4, v4, s12, v1
.LBB23_787:
	s_or_b64 exec, exec, s[14:15]
.LBB23_788:
	s_or_b64 exec, exec, s[10:11]
	global_store_byte v[2:3], v4, off
.LBB23_789:
	s_mov_b64 s[10:11], -1
.LBB23_790:
	s_mov_b64 s[12:13], 0
.LBB23_791:
	s_and_b64 vcc, exec, s[12:13]
	s_cbranch_vccz .LBB23_831
; %bb.792:
	v_mov_b32_e32 v1, 22
	v_cmp_gt_i16_sdwa s[12:13], s16, v1 src0_sel:BYTE_0 src1_sel:DWORD
	s_mov_b64 s[8:9], -1
	s_and_b64 vcc, exec, s[12:13]
	s_cbranch_vccz .LBB23_824
; %bb.793:
	v_mov_b32_e32 v1, 24
	v_cmp_lt_i16_sdwa s[10:11], s16, v1 src0_sel:BYTE_0 src1_sel:DWORD
	s_and_b64 vcc, exec, s[10:11]
	s_cbranch_vccnz .LBB23_813
; %bb.794:
	v_cmp_gt_i16_sdwa s[10:11], s16, v1 src0_sel:BYTE_0 src1_sel:DWORD
	s_and_b64 vcc, exec, s[10:11]
	s_cbranch_vccz .LBB23_802
; %bb.795:
	v_and_b32_e32 v1, 0x7fffffff, v22
	s_mov_b32 s8, 0x47800000
	v_cmp_gt_u32_e32 vcc, s8, v1
	v_mov_b32_e32 v4, 0x80
	s_and_saveexec_b64 s[8:9], vcc
	s_cbranch_execz .LBB23_801
; %bb.796:
	s_mov_b32 s10, 0x37ffffff
	v_cmp_lt_u32_e32 vcc, s10, v1
	s_mov_b64 s[10:11], 0
                                        ; implicit-def: $vgpr1
	s_and_saveexec_b64 s[12:13], vcc
	s_xor_b64 s[12:13], exec, s[12:13]
	s_cbranch_execz .LBB23_964
; %bb.797:
	v_bfe_u32 v1, v22, 21, 1
	s_mov_b32 s14, 0x88fffff
	v_add3_u32 v1, v22, v1, s14
	s_mov_b64 s[10:11], exec
	v_lshrrev_b32_e32 v1, 21, v1
	s_or_saveexec_b64 s[12:13], s[12:13]
                                        ; implicit-def: $sgpr14
	s_xor_b64 exec, exec, s[12:13]
	s_cbranch_execnz .LBB23_965
.LBB23_798:
	s_or_b64 exec, exec, s[12:13]
	v_mov_b32_e32 v4, s14
	s_and_saveexec_b64 s[12:13], s[10:11]
.LBB23_799:
	v_lshrrev_b32_e32 v4, 24, v22
	s_movk_i32 s10, 0x80
	v_and_or_b32 v4, v4, s10, v1
.LBB23_800:
	s_or_b64 exec, exec, s[12:13]
.LBB23_801:
	s_or_b64 exec, exec, s[8:9]
	s_mov_b64 s[8:9], 0
	global_store_byte v[2:3], v4, off
.LBB23_802:
	s_and_b64 vcc, exec, s[8:9]
	s_cbranch_vccz .LBB23_812
; %bb.803:
	v_and_b32_e32 v4, 0x7fffffff, v22
	s_mov_b32 s8, 0x43f00000
	v_cmp_gt_u32_e32 vcc, s8, v4
                                        ; implicit-def: $vgpr1
	s_and_saveexec_b64 s[8:9], vcc
	s_xor_b64 s[8:9], exec, s[8:9]
	s_cbranch_execz .LBB23_809
; %bb.804:
	s_mov_b32 s10, 0x3c7fffff
	v_cmp_lt_u32_e32 vcc, s10, v4
                                        ; implicit-def: $vgpr1
	s_and_saveexec_b64 s[10:11], vcc
	s_xor_b64 s[10:11], exec, s[10:11]
; %bb.805:
	v_bfe_u32 v1, v22, 20, 1
	s_mov_b32 s12, 0x407ffff
	v_add3_u32 v1, v22, v1, s12
	v_lshrrev_b32_e32 v4, 20, v1
	v_and_b32_e32 v1, 0xff00000, v1
	s_mov_b32 s12, 0x7f00000
	v_mov_b32_e32 v5, 0x7e
	v_cmp_ne_u32_e32 vcc, s12, v1
	v_cndmask_b32_e32 v1, v5, v4, vcc
; %bb.806:
	s_andn2_saveexec_b64 s[10:11], s[10:11]
; %bb.807:
	s_mov_b32 s12, 0x46800000
	v_add_f32_e64 v1, |v22|, s12
; %bb.808:
	s_or_b64 exec, exec, s[10:11]
                                        ; implicit-def: $vgpr4
.LBB23_809:
	s_andn2_saveexec_b64 s[8:9], s[8:9]
; %bb.810:
	s_mov_b32 s10, 0x7f800000
	v_mov_b32_e32 v1, 0x7e
	v_mov_b32_e32 v5, 0x7f
	v_cmp_lt_u32_e32 vcc, s10, v4
	v_cndmask_b32_e32 v1, v1, v5, vcc
; %bb.811:
	s_or_b64 exec, exec, s[8:9]
	v_lshrrev_b32_e32 v4, 24, v22
	s_movk_i32 s8, 0x80
	v_and_or_b32 v1, v4, s8, v1
	global_store_byte v[2:3], v1, off
.LBB23_812:
	s_mov_b64 s[8:9], 0
.LBB23_813:
	s_andn2_b64 vcc, exec, s[8:9]
	s_cbranch_vccnz .LBB23_823
; %bb.814:
	v_and_b32_e32 v4, 0x7fffffff, v22
	s_mov_b32 s8, 0x47800000
	v_cmp_gt_u32_e32 vcc, s8, v4
                                        ; implicit-def: $vgpr1
	s_and_saveexec_b64 s[8:9], vcc
	s_xor_b64 s[8:9], exec, s[8:9]
	s_cbranch_execz .LBB23_820
; %bb.815:
	s_mov_b32 s10, 0x387fffff
	v_cmp_lt_u32_e32 vcc, s10, v4
                                        ; implicit-def: $vgpr1
	s_and_saveexec_b64 s[10:11], vcc
	s_xor_b64 s[10:11], exec, s[10:11]
; %bb.816:
	v_bfe_u32 v1, v22, 21, 1
	s_mov_b32 s12, 0x80fffff
	v_add3_u32 v1, v22, v1, s12
	v_lshrrev_b32_e32 v1, 21, v1
; %bb.817:
	s_andn2_saveexec_b64 s[10:11], s[10:11]
; %bb.818:
	s_mov_b32 s12, 0x43000000
	v_add_f32_e64 v1, |v22|, s12
; %bb.819:
	s_or_b64 exec, exec, s[10:11]
                                        ; implicit-def: $vgpr4
.LBB23_820:
	s_andn2_saveexec_b64 s[8:9], s[8:9]
; %bb.821:
	s_mov_b32 s10, 0x7f800000
	v_mov_b32_e32 v1, 0x7c
	v_mov_b32_e32 v5, 0x7f
	v_cmp_lt_u32_e32 vcc, s10, v4
	v_cndmask_b32_e32 v1, v1, v5, vcc
; %bb.822:
	s_or_b64 exec, exec, s[8:9]
	v_lshrrev_b32_e32 v4, 24, v22
	s_movk_i32 s8, 0x80
	v_and_or_b32 v1, v4, s8, v1
	global_store_byte v[2:3], v1, off
.LBB23_823:
	s_mov_b64 s[8:9], 0
	s_mov_b64 s[10:11], -1
.LBB23_824:
	s_andn2_b64 vcc, exec, s[8:9]
	s_mov_b64 s[8:9], 0
	s_cbranch_vccnz .LBB23_831
; %bb.825:
	v_mov_b32_e32 v1, 14
	v_cmp_gt_i16_sdwa s[8:9], s16, v1 src0_sel:BYTE_0 src1_sel:DWORD
	s_mov_b64 s[12:13], -1
	s_and_b64 vcc, exec, s[8:9]
	s_cbranch_vccz .LBB23_829
; %bb.826:
	v_mov_b32_e32 v1, 15
	v_cmp_eq_u16_sdwa s[8:9], s16, v1 src0_sel:BYTE_0 src1_sel:DWORD
	s_mov_b64 s[4:5], -1
	s_and_b64 vcc, exec, s[8:9]
	s_cbranch_vccz .LBB23_828
; %bb.827:
	v_bfe_u32 v1, v22, 16, 1
	s_movk_i32 s4, 0x7fff
	v_add3_u32 v1, v22, v1, s4
	v_lshrrev_b32_e32 v1, 16, v1
	v_mov_b32_e32 v4, 0x7fc0
	v_cmp_o_f32_e32 vcc, v22, v22
	v_cndmask_b32_e32 v1, v4, v1, vcc
	global_store_short v[2:3], v1, off
	s_mov_b64 s[4:5], 0
	s_mov_b64 s[10:11], -1
.LBB23_828:
	s_mov_b64 s[12:13], 0
.LBB23_829:
	s_mov_b64 s[8:9], 0
	s_and_b64 vcc, exec, s[12:13]
	s_cbranch_vccz .LBB23_831
; %bb.830:
	v_mov_b32_e32 v1, 11
	v_cmp_ne_u16_sdwa s[4:5], s16, v1 src0_sel:BYTE_0 src1_sel:DWORD
	s_mov_b64 s[8:9], -1
.LBB23_831:
	s_and_b64 vcc, exec, s[4:5]
	s_cbranch_vccnz .LBB23_963
; %bb.832:
	s_andn2_b64 vcc, exec, s[8:9]
	s_cbranch_vccnz .LBB23_834
.LBB23_833:
	v_cmp_neq_f32_e32 vcc, 0, v22
	v_cndmask_b32_e64 v1, 0, 1, vcc
	s_mov_b64 s[10:11], -1
	global_store_byte v[2:3], v1, off
.LBB23_834:
	s_branch .LBB23_755
.LBB23_835:
	v_mov_b32_e32 v1, 5
	v_cmp_lt_i16_sdwa s[8:9], s16, v1 src0_sel:BYTE_0 src1_sel:DWORD
	s_mov_b64 s[4:5], -1
	s_and_b64 vcc, exec, s[8:9]
	s_cbranch_vccnz .LBB23_856
; %bb.836:
	v_mov_b32_e32 v1, 8
	v_cmp_lt_i16_sdwa s[8:9], s16, v1 src0_sel:BYTE_0 src1_sel:DWORD
	s_and_b64 vcc, exec, s[8:9]
	s_cbranch_vccnz .LBB23_846
; %bb.837:
	v_mov_b32_e32 v1, 9
	v_cmp_lt_i16_sdwa s[8:9], s16, v1 src0_sel:BYTE_0 src1_sel:DWORD
	s_and_b64 vcc, exec, s[8:9]
	s_cbranch_vccnz .LBB23_843
; %bb.838:
	v_cmp_gt_i16_sdwa s[8:9], s16, v1 src0_sel:BYTE_0 src1_sel:DWORD
	s_and_b64 vcc, exec, s[8:9]
	s_cbranch_vccz .LBB23_840
; %bb.839:
	v_mov_b32_e32 v6, 0
	v_cvt_f64_f32_e32 v[4:5], v22
	v_mov_b32_e32 v7, v6
	global_store_dwordx4 v[2:3], v[4:7], off
	s_mov_b64 s[4:5], 0
.LBB23_840:
	s_andn2_b64 vcc, exec, s[4:5]
	s_cbranch_vccnz .LBB23_842
; %bb.841:
	v_mov_b32_e32 v23, 0
	global_store_dwordx2 v[2:3], v[22:23], off
.LBB23_842:
	s_mov_b64 s[4:5], 0
.LBB23_843:
	s_andn2_b64 vcc, exec, s[4:5]
	s_cbranch_vccnz .LBB23_845
; %bb.844:
	v_cvt_f16_f32_e32 v1, v22
	global_store_dword v[2:3], v1, off
.LBB23_845:
	s_mov_b64 s[4:5], 0
.LBB23_846:
	s_andn2_b64 vcc, exec, s[4:5]
	s_cbranch_vccnz .LBB23_855
; %bb.847:
	v_mov_b32_e32 v1, 6
	v_cmp_lt_i16_sdwa s[8:9], s16, v1 src0_sel:BYTE_0 src1_sel:DWORD
	s_mov_b64 s[4:5], -1
	s_and_b64 vcc, exec, s[8:9]
	s_cbranch_vccnz .LBB23_853
; %bb.848:
	v_cmp_gt_i16_sdwa s[8:9], s16, v1 src0_sel:BYTE_0 src1_sel:DWORD
	s_and_b64 vcc, exec, s[8:9]
	s_cbranch_vccz .LBB23_850
; %bb.849:
	v_cvt_f64_f32_e32 v[4:5], v22
	global_store_dwordx2 v[2:3], v[4:5], off
	s_mov_b64 s[4:5], 0
.LBB23_850:
	s_andn2_b64 vcc, exec, s[4:5]
	s_cbranch_vccnz .LBB23_852
; %bb.851:
	global_store_dword v[2:3], v22, off
.LBB23_852:
	s_mov_b64 s[4:5], 0
.LBB23_853:
	s_andn2_b64 vcc, exec, s[4:5]
	s_cbranch_vccnz .LBB23_855
; %bb.854:
	v_cvt_f16_f32_e32 v1, v22
	global_store_short v[2:3], v1, off
.LBB23_855:
	s_mov_b64 s[4:5], 0
.LBB23_856:
	s_andn2_b64 vcc, exec, s[4:5]
	s_cbranch_vccnz .LBB23_872
; %bb.857:
	v_mov_b32_e32 v1, 2
	v_cmp_lt_i16_sdwa s[8:9], s16, v1 src0_sel:BYTE_0 src1_sel:DWORD
	s_mov_b64 s[4:5], -1
	s_and_b64 vcc, exec, s[8:9]
	s_cbranch_vccnz .LBB23_867
; %bb.858:
	v_mov_b32_e32 v1, 3
	v_cmp_lt_i16_sdwa s[8:9], s16, v1 src0_sel:BYTE_0 src1_sel:DWORD
	s_and_b64 vcc, exec, s[8:9]
	s_cbranch_vccnz .LBB23_864
; %bb.859:
	v_cmp_gt_i16_sdwa s[8:9], s16, v1 src0_sel:BYTE_0 src1_sel:DWORD
	s_and_b64 vcc, exec, s[8:9]
	s_cbranch_vccz .LBB23_861
; %bb.860:
	v_trunc_f32_e32 v1, v22
	s_mov_b32 s4, 0x2f800000
	v_mul_f32_e64 v4, |v1|, s4
	v_floor_f32_e32 v4, v4
	s_mov_b32 s4, 0xcf800000
	v_cvt_u32_f32_e32 v5, v4
	v_fma_f32 v4, v4, s4, |v1|
	v_cvt_u32_f32_e32 v4, v4
	v_ashrrev_i32_e32 v1, 31, v1
	v_xor_b32_e32 v5, v5, v1
	s_mov_b64 s[4:5], 0
	v_xor_b32_e32 v4, v4, v1
	v_sub_co_u32_e32 v4, vcc, v4, v1
	v_subb_co_u32_e32 v5, vcc, v5, v1, vcc
	global_store_dwordx2 v[2:3], v[4:5], off
.LBB23_861:
	s_andn2_b64 vcc, exec, s[4:5]
	s_cbranch_vccnz .LBB23_863
; %bb.862:
	v_cvt_i32_f32_e32 v1, v22
	global_store_dword v[2:3], v1, off
.LBB23_863:
	s_mov_b64 s[4:5], 0
.LBB23_864:
	s_andn2_b64 vcc, exec, s[4:5]
	s_cbranch_vccnz .LBB23_866
; %bb.865:
	v_cvt_i32_f32_e32 v1, v22
	global_store_short v[2:3], v1, off
.LBB23_866:
	s_mov_b64 s[4:5], 0
.LBB23_867:
	s_andn2_b64 vcc, exec, s[4:5]
	s_cbranch_vccnz .LBB23_872
; %bb.868:
	v_mov_b32_e32 v1, 0
	v_cmp_gt_i16_sdwa s[8:9], s16, v1 src0_sel:BYTE_0 src1_sel:DWORD
	s_mov_b64 s[4:5], -1
	s_and_b64 vcc, exec, s[8:9]
	s_cbranch_vccz .LBB23_870
; %bb.869:
	v_cvt_i32_f32_e32 v1, v22
	s_mov_b64 s[4:5], 0
	global_store_byte v[2:3], v1, off
.LBB23_870:
	s_andn2_b64 vcc, exec, s[4:5]
	s_cbranch_vccnz .LBB23_872
; %bb.871:
	v_trunc_f32_e32 v1, v22
	s_mov_b32 s4, 0x2f800000
	v_mul_f32_e64 v4, |v1|, s4
	v_floor_f32_e32 v4, v4
	s_mov_b32 s4, 0xcf800000
	v_fma_f32 v4, v4, s4, |v1|
	v_cvt_u32_f32_e32 v4, v4
	v_ashrrev_i32_e32 v1, 31, v1
	v_xor_b32_e32 v4, v4, v1
	v_sub_u32_e32 v1, v4, v1
	global_store_byte v[2:3], v1, off
.LBB23_872:
.LBB23_873:
	v_mov_b32_e32 v1, s37
	v_add_co_u32_e32 v2, vcc, s36, v32
	v_addc_co_u32_e32 v3, vcc, 0, v1, vcc
	v_mov_b32_e32 v1, 11
	v_cmp_lt_i16_sdwa s[4:5], s16, v1 src0_sel:BYTE_0 src1_sel:DWORD
	s_and_b64 vcc, exec, s[4:5]
	s_cbranch_vccnz .LBB23_880
; %bb.874:
	v_mov_b32_e32 v1, 25
	v_cmp_gt_i16_sdwa s[4:5], s16, v1 src0_sel:BYTE_0 src1_sel:DWORD
	s_mov_b64 s[12:13], -1
	s_mov_b64 s[8:9], 0
	s_and_b64 vcc, exec, s[4:5]
	s_mov_b64 s[10:11], 0
	s_mov_b64 s[4:5], 0
	s_cbranch_vccz .LBB23_994
; %bb.875:
	v_mov_b32_e32 v1, 28
	v_cmp_gt_i16_sdwa s[4:5], s16, v1 src0_sel:BYTE_0 src1_sel:DWORD
	s_and_b64 vcc, exec, s[4:5]
	s_cbranch_vccz .LBB23_959
; %bb.876:
	v_mov_b32_e32 v1, 43
	v_cmp_gt_i16_sdwa s[4:5], s16, v1 src0_sel:BYTE_0 src1_sel:DWORD
	s_and_b64 vcc, exec, s[4:5]
	;; [unrolled: 5-line block ×3, first 2 shown]
	s_cbranch_vccz .LBB23_966
; %bb.878:
	v_mov_b32_e32 v1, 46
	v_cmp_eq_u16_sdwa s[10:11], s16, v1 src0_sel:BYTE_0 src1_sel:DWORD
	s_mov_b64 s[4:5], -1
	s_mov_b64 s[12:13], 0
	s_and_b64 vcc, exec, s[10:11]
	s_mov_b64 s[10:11], 0
	s_cbranch_vccz .LBB23_967
; %bb.879:
	v_bfe_u32 v1, v20, 16, 1
	s_movk_i32 s4, 0x7fff
	v_add3_u32 v1, v20, v1, s4
	v_lshrrev_b32_e32 v1, 16, v1
	v_mov_b32_e32 v4, 0x7fc0
	v_cmp_o_f32_e32 vcc, v20, v20
	v_cndmask_b32_e32 v1, v4, v1, vcc
	global_store_dword v[2:3], v1, off
	s_mov_b64 s[4:5], 0
	s_mov_b64 s[10:11], -1
	s_branch .LBB23_967
.LBB23_880:
	s_mov_b64 s[10:11], 0
	s_cbranch_execnz .LBB23_1038
.LBB23_881:
	s_andn2_b64 vcc, exec, s[10:11]
	s_cbranch_vccnz .LBB23_1076
.LBB23_882:
	v_mov_b32_e32 v1, s37
	v_add_co_u32_e32 v2, vcc, s36, v30
	v_addc_co_u32_e32 v3, vcc, 0, v1, vcc
	v_mov_b32_e32 v1, 0xff
	v_and_b32_e32 v4, s16, v1
	v_cmp_gt_i16_e32 vcc, 11, v4
	s_cbranch_vccnz .LBB23_958
; %bb.883:
	v_cmp_lt_i16_e32 vcc, 25, v4
	s_mov_b64 s[10:11], -1
	s_mov_b64 s[8:9], 0
	s_mov_b64 s[4:5], 0
	s_cbranch_vccz .LBB23_916
; %bb.884:
	v_cmp_lt_i16_e32 vcc, 28, v4
	s_cbranch_vccz .LBB23_900
; %bb.885:
	v_cmp_lt_i16_e32 vcc, 43, v4
	;; [unrolled: 3-line block ×3, first 2 shown]
	s_cbranch_vccz .LBB23_890
; %bb.887:
	v_cmp_eq_u16_e32 vcc, 46, v4
	s_mov_b64 s[4:5], -1
	s_cbranch_vccz .LBB23_889
; %bb.888:
	v_bfe_u32 v1, v0, 16, 1
	s_movk_i32 s4, 0x7fff
	v_add3_u32 v1, v0, v1, s4
	v_lshrrev_b32_e32 v1, 16, v1
	v_mov_b32_e32 v5, 0x7fc0
	v_cmp_o_f32_e32 vcc, v0, v0
	v_cndmask_b32_e32 v1, v5, v1, vcc
	global_store_dword v[2:3], v1, off
	s_mov_b64 s[4:5], 0
.LBB23_889:
	s_mov_b64 s[10:11], 0
.LBB23_890:
	s_and_b64 vcc, exec, s[10:11]
	s_cbranch_vccz .LBB23_895
; %bb.891:
	v_cmp_eq_u16_e32 vcc, 44, v4
	s_mov_b64 s[4:5], -1
	s_cbranch_vccz .LBB23_895
; %bb.892:
	v_bfe_u32 v1, v0, 23, 8
	s_movk_i32 s4, 0xff
	v_cmp_ne_u32_e32 vcc, s4, v1
	v_mov_b32_e32 v5, 0xff
	s_and_saveexec_b64 s[10:11], vcc
; %bb.893:
	s_mov_b32 s4, 0x3fffff
	v_and_b32_e32 v6, 0x400000, v0
	v_and_or_b32 v1, v0, s4, v1
	v_cmp_ne_u32_e32 vcc, 0, v6
	v_cmp_ne_u32_e64 s[4:5], 0, v1
	s_and_b64 s[4:5], vcc, s[4:5]
	v_lshrrev_b32_e32 v5, 23, v0
	v_cndmask_b32_e64 v1, 0, 1, s[4:5]
	v_add_u32_e32 v5, v5, v1
; %bb.894:
	s_or_b64 exec, exec, s[10:11]
	s_mov_b64 s[4:5], 0
	global_store_byte v[2:3], v5, off
.LBB23_895:
	s_mov_b64 s[10:11], 0
.LBB23_896:
	s_and_b64 vcc, exec, s[10:11]
	s_cbranch_vccz .LBB23_899
; %bb.897:
	v_cmp_eq_u16_e32 vcc, 29, v4
	s_mov_b64 s[4:5], -1
	s_cbranch_vccz .LBB23_899
; %bb.898:
	v_trunc_f32_e32 v1, v0
	v_mul_f32_e32 v5, 0x2f800000, v1
	v_floor_f32_e32 v5, v5
	v_fmac_f32_e32 v1, 0xcf800000, v5
	v_cvt_u32_f32_e32 v7, v5
	v_cvt_u32_f32_e32 v6, v1
	s_mov_b64 s[4:5], 0
	global_store_dwordx2 v[2:3], v[6:7], off
.LBB23_899:
	s_mov_b64 s[10:11], 0
.LBB23_900:
	s_and_b64 vcc, exec, s[10:11]
	s_cbranch_vccz .LBB23_915
; %bb.901:
	v_cmp_gt_i16_e32 vcc, 27, v4
	s_mov_b64 s[10:11], -1
	s_cbranch_vccnz .LBB23_907
; %bb.902:
	v_cvt_u32_f32_e32 v1, v0
	v_cmp_lt_i16_e32 vcc, 27, v4
	s_cbranch_vccz .LBB23_904
; %bb.903:
	global_store_dword v[2:3], v1, off
	s_mov_b64 s[10:11], 0
.LBB23_904:
	s_andn2_b64 vcc, exec, s[10:11]
	s_cbranch_vccnz .LBB23_906
; %bb.905:
	global_store_short v[2:3], v1, off
.LBB23_906:
	s_mov_b64 s[10:11], 0
.LBB23_907:
	s_andn2_b64 vcc, exec, s[10:11]
	s_cbranch_vccnz .LBB23_915
; %bb.908:
	v_and_b32_e32 v1, 0x7fffffff, v0
	s_mov_b32 s10, 0x43800000
	v_cmp_gt_u32_e32 vcc, s10, v1
	v_mov_b32_e32 v5, 0x80
	s_and_saveexec_b64 s[10:11], vcc
	s_cbranch_execz .LBB23_914
; %bb.909:
	s_mov_b32 s12, 0x3bffffff
	v_cmp_lt_u32_e32 vcc, s12, v1
	s_mov_b64 s[12:13], 0
                                        ; implicit-def: $vgpr1
	s_and_saveexec_b64 s[14:15], vcc
	s_xor_b64 s[14:15], exec, s[14:15]
	s_cbranch_execz .LBB23_1126
; %bb.910:
	v_bfe_u32 v1, v0, 20, 1
	s_mov_b32 s16, 0x487ffff
	v_add3_u32 v1, v0, v1, s16
	s_mov_b64 s[12:13], exec
	v_lshrrev_b32_e32 v1, 20, v1
	s_or_saveexec_b64 s[14:15], s[14:15]
                                        ; implicit-def: $sgpr16
	s_xor_b64 exec, exec, s[14:15]
	s_cbranch_execnz .LBB23_1127
.LBB23_911:
	s_or_b64 exec, exec, s[14:15]
	v_mov_b32_e32 v5, s16
	s_and_saveexec_b64 s[14:15], s[12:13]
.LBB23_912:
	v_lshrrev_b32_e32 v5, 24, v0
	s_movk_i32 s12, 0x80
	v_and_or_b32 v5, v5, s12, v1
.LBB23_913:
	s_or_b64 exec, exec, s[14:15]
.LBB23_914:
	s_or_b64 exec, exec, s[10:11]
	global_store_byte v[2:3], v5, off
.LBB23_915:
	s_mov_b64 s[10:11], 0
.LBB23_916:
	s_and_b64 vcc, exec, s[10:11]
	s_cbranch_vccz .LBB23_956
; %bb.917:
	v_cmp_lt_i16_e32 vcc, 22, v4
	s_mov_b64 s[8:9], -1
	s_cbranch_vccz .LBB23_949
; %bb.918:
	v_cmp_gt_i16_e32 vcc, 24, v4
	s_cbranch_vccnz .LBB23_938
; %bb.919:
	v_cmp_lt_i16_e32 vcc, 24, v4
	s_cbranch_vccz .LBB23_927
; %bb.920:
	v_and_b32_e32 v1, 0x7fffffff, v0
	s_mov_b32 s8, 0x47800000
	v_cmp_gt_u32_e32 vcc, s8, v1
	v_mov_b32_e32 v5, 0x80
	s_and_saveexec_b64 s[8:9], vcc
	s_cbranch_execz .LBB23_926
; %bb.921:
	s_mov_b32 s10, 0x37ffffff
	v_cmp_lt_u32_e32 vcc, s10, v1
	s_mov_b64 s[10:11], 0
                                        ; implicit-def: $vgpr1
	s_and_saveexec_b64 s[12:13], vcc
	s_xor_b64 s[12:13], exec, s[12:13]
	s_cbranch_execz .LBB23_1135
; %bb.922:
	v_bfe_u32 v1, v0, 21, 1
	s_mov_b32 s14, 0x88fffff
	v_add3_u32 v1, v0, v1, s14
	s_mov_b64 s[10:11], exec
	v_lshrrev_b32_e32 v1, 21, v1
	s_or_saveexec_b64 s[12:13], s[12:13]
                                        ; implicit-def: $sgpr14
	s_xor_b64 exec, exec, s[12:13]
	s_cbranch_execnz .LBB23_1136
.LBB23_923:
	s_or_b64 exec, exec, s[12:13]
	v_mov_b32_e32 v5, s14
	s_and_saveexec_b64 s[12:13], s[10:11]
.LBB23_924:
	v_lshrrev_b32_e32 v5, 24, v0
	s_movk_i32 s10, 0x80
	v_and_or_b32 v5, v5, s10, v1
.LBB23_925:
	s_or_b64 exec, exec, s[12:13]
.LBB23_926:
	s_or_b64 exec, exec, s[8:9]
	s_mov_b64 s[8:9], 0
	global_store_byte v[2:3], v5, off
.LBB23_927:
	s_and_b64 vcc, exec, s[8:9]
	s_cbranch_vccz .LBB23_937
; %bb.928:
	v_and_b32_e32 v5, 0x7fffffff, v0
	s_mov_b32 s8, 0x43f00000
	v_cmp_gt_u32_e32 vcc, s8, v5
                                        ; implicit-def: $vgpr1
	s_and_saveexec_b64 s[8:9], vcc
	s_xor_b64 s[8:9], exec, s[8:9]
	s_cbranch_execz .LBB23_934
; %bb.929:
	s_mov_b32 s10, 0x3c7fffff
	v_cmp_lt_u32_e32 vcc, s10, v5
                                        ; implicit-def: $vgpr1
	s_and_saveexec_b64 s[10:11], vcc
	s_xor_b64 s[10:11], exec, s[10:11]
; %bb.930:
	v_bfe_u32 v1, v0, 20, 1
	s_mov_b32 s12, 0x407ffff
	v_add3_u32 v1, v0, v1, s12
	v_lshrrev_b32_e32 v5, 20, v1
	v_and_b32_e32 v1, 0xff00000, v1
	s_mov_b32 s12, 0x7f00000
	v_mov_b32_e32 v6, 0x7e
	v_cmp_ne_u32_e32 vcc, s12, v1
	v_cndmask_b32_e32 v1, v6, v5, vcc
; %bb.931:
	s_andn2_saveexec_b64 s[10:11], s[10:11]
; %bb.932:
	s_mov_b32 s12, 0x46800000
	v_add_f32_e64 v1, |v0|, s12
; %bb.933:
	s_or_b64 exec, exec, s[10:11]
                                        ; implicit-def: $vgpr5
.LBB23_934:
	s_andn2_saveexec_b64 s[8:9], s[8:9]
; %bb.935:
	s_mov_b32 s10, 0x7f800000
	v_mov_b32_e32 v1, 0x7e
	v_mov_b32_e32 v6, 0x7f
	v_cmp_lt_u32_e32 vcc, s10, v5
	v_cndmask_b32_e32 v1, v1, v6, vcc
; %bb.936:
	s_or_b64 exec, exec, s[8:9]
	v_lshrrev_b32_e32 v5, 24, v0
	s_movk_i32 s8, 0x80
	v_and_or_b32 v1, v5, s8, v1
	global_store_byte v[2:3], v1, off
.LBB23_937:
	s_mov_b64 s[8:9], 0
.LBB23_938:
	s_andn2_b64 vcc, exec, s[8:9]
	s_cbranch_vccnz .LBB23_948
; %bb.939:
	v_and_b32_e32 v5, 0x7fffffff, v0
	s_mov_b32 s8, 0x47800000
	v_cmp_gt_u32_e32 vcc, s8, v5
                                        ; implicit-def: $vgpr1
	s_and_saveexec_b64 s[8:9], vcc
	s_xor_b64 s[8:9], exec, s[8:9]
	s_cbranch_execz .LBB23_945
; %bb.940:
	s_mov_b32 s10, 0x387fffff
	v_cmp_lt_u32_e32 vcc, s10, v5
                                        ; implicit-def: $vgpr1
	s_and_saveexec_b64 s[10:11], vcc
	s_xor_b64 s[10:11], exec, s[10:11]
; %bb.941:
	v_bfe_u32 v1, v0, 21, 1
	s_mov_b32 s12, 0x80fffff
	v_add3_u32 v1, v0, v1, s12
	v_lshrrev_b32_e32 v1, 21, v1
; %bb.942:
	s_andn2_saveexec_b64 s[10:11], s[10:11]
; %bb.943:
	s_mov_b32 s12, 0x43000000
	v_add_f32_e64 v1, |v0|, s12
; %bb.944:
	s_or_b64 exec, exec, s[10:11]
                                        ; implicit-def: $vgpr5
.LBB23_945:
	s_andn2_saveexec_b64 s[8:9], s[8:9]
; %bb.946:
	s_mov_b32 s10, 0x7f800000
	v_mov_b32_e32 v1, 0x7c
	v_mov_b32_e32 v6, 0x7f
	v_cmp_lt_u32_e32 vcc, s10, v5
	v_cndmask_b32_e32 v1, v1, v6, vcc
; %bb.947:
	s_or_b64 exec, exec, s[8:9]
	v_lshrrev_b32_e32 v5, 24, v0
	s_movk_i32 s8, 0x80
	v_and_or_b32 v1, v5, s8, v1
	global_store_byte v[2:3], v1, off
.LBB23_948:
	s_mov_b64 s[8:9], 0
.LBB23_949:
	s_andn2_b64 vcc, exec, s[8:9]
	s_mov_b64 s[8:9], 0
	s_cbranch_vccnz .LBB23_956
; %bb.950:
	v_cmp_lt_i16_e32 vcc, 14, v4
	s_mov_b64 s[10:11], -1
	s_cbranch_vccz .LBB23_954
; %bb.951:
	v_cmp_eq_u16_e32 vcc, 15, v4
	s_mov_b64 s[4:5], -1
	s_cbranch_vccz .LBB23_953
; %bb.952:
	v_bfe_u32 v1, v0, 16, 1
	s_movk_i32 s4, 0x7fff
	v_add3_u32 v1, v0, v1, s4
	v_lshrrev_b32_e32 v1, 16, v1
	v_mov_b32_e32 v5, 0x7fc0
	v_cmp_o_f32_e32 vcc, v0, v0
	v_cndmask_b32_e32 v1, v5, v1, vcc
	global_store_short v[2:3], v1, off
	s_mov_b64 s[4:5], 0
.LBB23_953:
	s_mov_b64 s[10:11], 0
.LBB23_954:
	s_and_b64 vcc, exec, s[10:11]
	s_cbranch_vccz .LBB23_956
; %bb.955:
	v_cmp_ne_u16_e64 s[4:5], 11, v4
	s_mov_b64 s[8:9], -1
.LBB23_956:
	s_and_b64 vcc, exec, s[4:5]
	s_cbranch_vccnz .LBB23_1130
.LBB23_957:
	s_mov_b64 s[4:5], 0
	s_branch .LBB23_1077
.LBB23_958:
	s_mov_b64 s[8:9], 0
	s_mov_b64 s[4:5], -1
	s_branch .LBB23_1077
.LBB23_959:
	s_mov_b64 s[4:5], 0
	s_branch .LBB23_977
.LBB23_960:
	s_or_saveexec_b64 s[14:15], s[14:15]
                                        ; implicit-def: $sgpr17
	s_xor_b64 exec, exec, s[14:15]
	s_cbranch_execz .LBB23_785
.LBB23_961:
	s_mov_b32 s17, 0x46000000
	v_add_f32_e64 v1, |v22|, s17
	v_and_b32_e32 v1, 0xff, v1
	v_cmp_ne_u32_e32 vcc, 0, v1
	s_andn2_b64 s[12:13], s[12:13], exec
	s_and_b64 s[18:19], vcc, exec
	s_mov_b32 s17, 0
	s_or_b64 s[12:13], s[12:13], s[18:19]
	s_or_b64 exec, exec, s[14:15]
	v_mov_b32_e32 v4, s17
	s_and_saveexec_b64 s[14:15], s[12:13]
	s_cbranch_execnz .LBB23_786
	s_branch .LBB23_787
.LBB23_962:
	s_mov_b64 s[4:5], 0
	s_branch .LBB23_973
.LBB23_963:
	s_trap 2
	s_or_b64 s[6:7], s[6:7], exec
	s_cbranch_execz .LBB23_833
	s_branch .LBB23_834
.LBB23_964:
	s_or_saveexec_b64 s[12:13], s[12:13]
                                        ; implicit-def: $sgpr14
	s_xor_b64 exec, exec, s[12:13]
	s_cbranch_execz .LBB23_798
.LBB23_965:
	s_mov_b32 s14, 0x42800000
	v_add_f32_e64 v1, |v22|, s14
	v_and_b32_e32 v1, 0xff, v1
	v_cmp_ne_u32_e32 vcc, 0, v1
	s_andn2_b64 s[10:11], s[10:11], exec
	s_and_b64 s[18:19], vcc, exec
	s_mov_b32 s14, 0
	s_or_b64 s[10:11], s[10:11], s[18:19]
	s_or_b64 exec, exec, s[12:13]
	v_mov_b32_e32 v4, s14
	s_and_saveexec_b64 s[12:13], s[10:11]
	s_cbranch_execnz .LBB23_799
	s_branch .LBB23_800
.LBB23_966:
	s_mov_b64 s[4:5], 0
.LBB23_967:
	s_and_b64 vcc, exec, s[12:13]
	s_cbranch_vccz .LBB23_972
; %bb.968:
	v_mov_b32_e32 v1, 44
	v_cmp_eq_u16_sdwa s[12:13], s16, v1 src0_sel:BYTE_0 src1_sel:DWORD
	s_mov_b64 s[4:5], -1
	s_and_b64 vcc, exec, s[12:13]
	s_cbranch_vccz .LBB23_972
; %bb.969:
	v_bfe_u32 v1, v20, 23, 8
	s_movk_i32 s4, 0xff
	v_cmp_ne_u32_e32 vcc, s4, v1
	v_mov_b32_e32 v4, 0xff
	s_and_saveexec_b64 s[10:11], vcc
; %bb.970:
	s_mov_b32 s4, 0x3fffff
	v_and_b32_e32 v5, 0x400000, v20
	v_and_or_b32 v1, v20, s4, v1
	v_cmp_ne_u32_e32 vcc, 0, v5
	v_cmp_ne_u32_e64 s[4:5], 0, v1
	s_and_b64 s[4:5], vcc, s[4:5]
	v_lshrrev_b32_e32 v4, 23, v20
	v_cndmask_b32_e64 v1, 0, 1, s[4:5]
	v_add_u32_e32 v4, v4, v1
; %bb.971:
	s_or_b64 exec, exec, s[10:11]
	s_mov_b64 s[4:5], 0
	s_mov_b64 s[10:11], -1
	global_store_byte v[2:3], v4, off
.LBB23_972:
	s_mov_b64 s[12:13], 0
.LBB23_973:
	s_and_b64 vcc, exec, s[12:13]
	s_cbranch_vccz .LBB23_976
; %bb.974:
	v_mov_b32_e32 v1, 29
	v_cmp_eq_u16_sdwa s[12:13], s16, v1 src0_sel:BYTE_0 src1_sel:DWORD
	s_mov_b64 s[4:5], -1
	s_and_b64 vcc, exec, s[12:13]
	s_cbranch_vccz .LBB23_976
; %bb.975:
	v_trunc_f32_e32 v1, v20
	v_mul_f32_e32 v4, 0x2f800000, v1
	v_floor_f32_e32 v4, v4
	v_fmac_f32_e32 v1, 0xcf800000, v4
	v_cvt_u32_f32_e32 v5, v4
	v_cvt_u32_f32_e32 v4, v1
	s_mov_b64 s[4:5], 0
	s_mov_b64 s[10:11], -1
	s_mov_b64 s[12:13], 0
	global_store_dwordx2 v[2:3], v[4:5], off
	s_branch .LBB23_977
.LBB23_976:
	s_mov_b64 s[12:13], 0
.LBB23_977:
	s_and_b64 vcc, exec, s[12:13]
	s_cbranch_vccz .LBB23_993
; %bb.978:
	v_mov_b32_e32 v1, 27
	v_cmp_lt_i16_sdwa s[12:13], s16, v1 src0_sel:BYTE_0 src1_sel:DWORD
	s_mov_b64 s[10:11], -1
	s_and_b64 vcc, exec, s[12:13]
	s_cbranch_vccnz .LBB23_984
; %bb.979:
	v_cmp_gt_i16_sdwa s[12:13], s16, v1 src0_sel:BYTE_0 src1_sel:DWORD
	v_cvt_u32_f32_e32 v1, v20
	s_and_b64 vcc, exec, s[12:13]
	s_cbranch_vccz .LBB23_981
; %bb.980:
	s_mov_b64 s[10:11], 0
	global_store_dword v[2:3], v1, off
.LBB23_981:
	s_andn2_b64 vcc, exec, s[10:11]
	s_cbranch_vccnz .LBB23_983
; %bb.982:
	global_store_short v[2:3], v1, off
.LBB23_983:
	s_mov_b64 s[10:11], 0
.LBB23_984:
	s_andn2_b64 vcc, exec, s[10:11]
	s_cbranch_vccnz .LBB23_992
; %bb.985:
	v_and_b32_e32 v1, 0x7fffffff, v20
	s_mov_b32 s10, 0x43800000
	v_cmp_gt_u32_e32 vcc, s10, v1
	v_mov_b32_e32 v4, 0x80
	s_and_saveexec_b64 s[10:11], vcc
	s_cbranch_execz .LBB23_991
; %bb.986:
	s_mov_b32 s12, 0x3bffffff
	v_cmp_lt_u32_e32 vcc, s12, v1
	s_mov_b64 s[12:13], 0
                                        ; implicit-def: $vgpr1
	s_and_saveexec_b64 s[14:15], vcc
	s_xor_b64 s[14:15], exec, s[14:15]
	s_cbranch_execz .LBB23_1121
; %bb.987:
	v_bfe_u32 v1, v20, 20, 1
	s_mov_b32 s17, 0x487ffff
	v_add3_u32 v1, v20, v1, s17
	s_mov_b64 s[12:13], exec
	v_lshrrev_b32_e32 v1, 20, v1
	s_or_saveexec_b64 s[14:15], s[14:15]
                                        ; implicit-def: $sgpr17
	s_xor_b64 exec, exec, s[14:15]
	s_cbranch_execnz .LBB23_1122
.LBB23_988:
	s_or_b64 exec, exec, s[14:15]
	v_mov_b32_e32 v4, s17
	s_and_saveexec_b64 s[14:15], s[12:13]
.LBB23_989:
	v_lshrrev_b32_e32 v4, 24, v20
	s_movk_i32 s12, 0x80
	v_and_or_b32 v4, v4, s12, v1
.LBB23_990:
	s_or_b64 exec, exec, s[14:15]
.LBB23_991:
	s_or_b64 exec, exec, s[10:11]
	global_store_byte v[2:3], v4, off
.LBB23_992:
	s_mov_b64 s[10:11], -1
.LBB23_993:
	s_mov_b64 s[12:13], 0
.LBB23_994:
	s_and_b64 vcc, exec, s[12:13]
	s_cbranch_vccz .LBB23_1034
; %bb.995:
	v_mov_b32_e32 v1, 22
	v_cmp_gt_i16_sdwa s[12:13], s16, v1 src0_sel:BYTE_0 src1_sel:DWORD
	s_mov_b64 s[8:9], -1
	s_and_b64 vcc, exec, s[12:13]
	s_cbranch_vccz .LBB23_1027
; %bb.996:
	v_mov_b32_e32 v1, 24
	v_cmp_lt_i16_sdwa s[10:11], s16, v1 src0_sel:BYTE_0 src1_sel:DWORD
	s_and_b64 vcc, exec, s[10:11]
	s_cbranch_vccnz .LBB23_1016
; %bb.997:
	v_cmp_gt_i16_sdwa s[10:11], s16, v1 src0_sel:BYTE_0 src1_sel:DWORD
	s_and_b64 vcc, exec, s[10:11]
	s_cbranch_vccz .LBB23_1005
; %bb.998:
	v_and_b32_e32 v1, 0x7fffffff, v20
	s_mov_b32 s8, 0x47800000
	v_cmp_gt_u32_e32 vcc, s8, v1
	v_mov_b32_e32 v4, 0x80
	s_and_saveexec_b64 s[8:9], vcc
	s_cbranch_execz .LBB23_1004
; %bb.999:
	s_mov_b32 s10, 0x37ffffff
	v_cmp_lt_u32_e32 vcc, s10, v1
	s_mov_b64 s[10:11], 0
                                        ; implicit-def: $vgpr1
	s_and_saveexec_b64 s[12:13], vcc
	s_xor_b64 s[12:13], exec, s[12:13]
	s_cbranch_execz .LBB23_1128
; %bb.1000:
	v_bfe_u32 v1, v20, 21, 1
	s_mov_b32 s14, 0x88fffff
	v_add3_u32 v1, v20, v1, s14
	s_mov_b64 s[10:11], exec
	v_lshrrev_b32_e32 v1, 21, v1
	s_or_saveexec_b64 s[12:13], s[12:13]
                                        ; implicit-def: $sgpr14
	s_xor_b64 exec, exec, s[12:13]
	s_cbranch_execnz .LBB23_1129
.LBB23_1001:
	s_or_b64 exec, exec, s[12:13]
	v_mov_b32_e32 v4, s14
	s_and_saveexec_b64 s[12:13], s[10:11]
.LBB23_1002:
	v_lshrrev_b32_e32 v4, 24, v20
	s_movk_i32 s10, 0x80
	v_and_or_b32 v4, v4, s10, v1
.LBB23_1003:
	s_or_b64 exec, exec, s[12:13]
.LBB23_1004:
	s_or_b64 exec, exec, s[8:9]
	s_mov_b64 s[8:9], 0
	global_store_byte v[2:3], v4, off
.LBB23_1005:
	s_and_b64 vcc, exec, s[8:9]
	s_cbranch_vccz .LBB23_1015
; %bb.1006:
	v_and_b32_e32 v4, 0x7fffffff, v20
	s_mov_b32 s8, 0x43f00000
	v_cmp_gt_u32_e32 vcc, s8, v4
                                        ; implicit-def: $vgpr1
	s_and_saveexec_b64 s[8:9], vcc
	s_xor_b64 s[8:9], exec, s[8:9]
	s_cbranch_execz .LBB23_1012
; %bb.1007:
	s_mov_b32 s10, 0x3c7fffff
	v_cmp_lt_u32_e32 vcc, s10, v4
                                        ; implicit-def: $vgpr1
	s_and_saveexec_b64 s[10:11], vcc
	s_xor_b64 s[10:11], exec, s[10:11]
; %bb.1008:
	v_bfe_u32 v1, v20, 20, 1
	s_mov_b32 s12, 0x407ffff
	v_add3_u32 v1, v20, v1, s12
	v_lshrrev_b32_e32 v4, 20, v1
	v_and_b32_e32 v1, 0xff00000, v1
	s_mov_b32 s12, 0x7f00000
	v_mov_b32_e32 v5, 0x7e
	v_cmp_ne_u32_e32 vcc, s12, v1
	v_cndmask_b32_e32 v1, v5, v4, vcc
; %bb.1009:
	s_andn2_saveexec_b64 s[10:11], s[10:11]
; %bb.1010:
	s_mov_b32 s12, 0x46800000
	v_add_f32_e64 v1, |v20|, s12
; %bb.1011:
	s_or_b64 exec, exec, s[10:11]
                                        ; implicit-def: $vgpr4
.LBB23_1012:
	s_andn2_saveexec_b64 s[8:9], s[8:9]
; %bb.1013:
	s_mov_b32 s10, 0x7f800000
	v_mov_b32_e32 v1, 0x7e
	v_mov_b32_e32 v5, 0x7f
	v_cmp_lt_u32_e32 vcc, s10, v4
	v_cndmask_b32_e32 v1, v1, v5, vcc
; %bb.1014:
	s_or_b64 exec, exec, s[8:9]
	v_lshrrev_b32_e32 v4, 24, v20
	s_movk_i32 s8, 0x80
	v_and_or_b32 v1, v4, s8, v1
	global_store_byte v[2:3], v1, off
.LBB23_1015:
	s_mov_b64 s[8:9], 0
.LBB23_1016:
	s_andn2_b64 vcc, exec, s[8:9]
	s_cbranch_vccnz .LBB23_1026
; %bb.1017:
	v_and_b32_e32 v4, 0x7fffffff, v20
	s_mov_b32 s8, 0x47800000
	v_cmp_gt_u32_e32 vcc, s8, v4
                                        ; implicit-def: $vgpr1
	s_and_saveexec_b64 s[8:9], vcc
	s_xor_b64 s[8:9], exec, s[8:9]
	s_cbranch_execz .LBB23_1023
; %bb.1018:
	s_mov_b32 s10, 0x387fffff
	v_cmp_lt_u32_e32 vcc, s10, v4
                                        ; implicit-def: $vgpr1
	s_and_saveexec_b64 s[10:11], vcc
	s_xor_b64 s[10:11], exec, s[10:11]
; %bb.1019:
	v_bfe_u32 v1, v20, 21, 1
	s_mov_b32 s12, 0x80fffff
	v_add3_u32 v1, v20, v1, s12
	v_lshrrev_b32_e32 v1, 21, v1
; %bb.1020:
	s_andn2_saveexec_b64 s[10:11], s[10:11]
; %bb.1021:
	s_mov_b32 s12, 0x43000000
	v_add_f32_e64 v1, |v20|, s12
; %bb.1022:
	s_or_b64 exec, exec, s[10:11]
                                        ; implicit-def: $vgpr4
.LBB23_1023:
	s_andn2_saveexec_b64 s[8:9], s[8:9]
; %bb.1024:
	s_mov_b32 s10, 0x7f800000
	v_mov_b32_e32 v1, 0x7c
	v_mov_b32_e32 v5, 0x7f
	v_cmp_lt_u32_e32 vcc, s10, v4
	v_cndmask_b32_e32 v1, v1, v5, vcc
; %bb.1025:
	s_or_b64 exec, exec, s[8:9]
	v_lshrrev_b32_e32 v4, 24, v20
	s_movk_i32 s8, 0x80
	v_and_or_b32 v1, v4, s8, v1
	global_store_byte v[2:3], v1, off
.LBB23_1026:
	s_mov_b64 s[8:9], 0
	s_mov_b64 s[10:11], -1
.LBB23_1027:
	s_andn2_b64 vcc, exec, s[8:9]
	s_mov_b64 s[8:9], 0
	s_cbranch_vccnz .LBB23_1034
; %bb.1028:
	v_mov_b32_e32 v1, 14
	v_cmp_gt_i16_sdwa s[8:9], s16, v1 src0_sel:BYTE_0 src1_sel:DWORD
	s_mov_b64 s[12:13], -1
	s_and_b64 vcc, exec, s[8:9]
	s_cbranch_vccz .LBB23_1032
; %bb.1029:
	v_mov_b32_e32 v1, 15
	v_cmp_eq_u16_sdwa s[8:9], s16, v1 src0_sel:BYTE_0 src1_sel:DWORD
	s_mov_b64 s[4:5], -1
	s_and_b64 vcc, exec, s[8:9]
	s_cbranch_vccz .LBB23_1031
; %bb.1030:
	v_bfe_u32 v1, v20, 16, 1
	s_movk_i32 s4, 0x7fff
	v_add3_u32 v1, v20, v1, s4
	v_lshrrev_b32_e32 v1, 16, v1
	v_mov_b32_e32 v4, 0x7fc0
	v_cmp_o_f32_e32 vcc, v20, v20
	v_cndmask_b32_e32 v1, v4, v1, vcc
	global_store_short v[2:3], v1, off
	s_mov_b64 s[4:5], 0
	s_mov_b64 s[10:11], -1
.LBB23_1031:
	s_mov_b64 s[12:13], 0
.LBB23_1032:
	s_mov_b64 s[8:9], 0
	s_and_b64 vcc, exec, s[12:13]
	s_cbranch_vccz .LBB23_1034
; %bb.1033:
	v_mov_b32_e32 v1, 11
	v_cmp_ne_u16_sdwa s[4:5], s16, v1 src0_sel:BYTE_0 src1_sel:DWORD
	s_mov_b64 s[8:9], -1
.LBB23_1034:
	s_and_b64 vcc, exec, s[4:5]
	s_cbranch_vccnz .LBB23_1123
; %bb.1035:
	s_andn2_b64 vcc, exec, s[8:9]
	s_cbranch_vccnz .LBB23_1037
.LBB23_1036:
	v_cmp_neq_f32_e32 vcc, 0, v20
	v_cndmask_b32_e64 v1, 0, 1, vcc
	s_mov_b64 s[10:11], -1
	global_store_byte v[2:3], v1, off
.LBB23_1037:
	s_branch .LBB23_881
.LBB23_1038:
	v_mov_b32_e32 v1, 5
	v_cmp_lt_i16_sdwa s[8:9], s16, v1 src0_sel:BYTE_0 src1_sel:DWORD
	s_mov_b64 s[4:5], -1
	s_and_b64 vcc, exec, s[8:9]
	s_cbranch_vccnz .LBB23_1059
; %bb.1039:
	v_mov_b32_e32 v1, 8
	v_cmp_lt_i16_sdwa s[8:9], s16, v1 src0_sel:BYTE_0 src1_sel:DWORD
	s_and_b64 vcc, exec, s[8:9]
	s_cbranch_vccnz .LBB23_1049
; %bb.1040:
	v_mov_b32_e32 v1, 9
	v_cmp_lt_i16_sdwa s[8:9], s16, v1 src0_sel:BYTE_0 src1_sel:DWORD
	s_and_b64 vcc, exec, s[8:9]
	s_cbranch_vccnz .LBB23_1046
; %bb.1041:
	v_cmp_gt_i16_sdwa s[8:9], s16, v1 src0_sel:BYTE_0 src1_sel:DWORD
	s_and_b64 vcc, exec, s[8:9]
	s_cbranch_vccz .LBB23_1043
; %bb.1042:
	v_mov_b32_e32 v6, 0
	v_cvt_f64_f32_e32 v[4:5], v20
	v_mov_b32_e32 v7, v6
	global_store_dwordx4 v[2:3], v[4:7], off
	s_mov_b64 s[4:5], 0
.LBB23_1043:
	s_andn2_b64 vcc, exec, s[4:5]
	s_cbranch_vccnz .LBB23_1045
; %bb.1044:
	v_mov_b32_e32 v21, 0
	global_store_dwordx2 v[2:3], v[20:21], off
.LBB23_1045:
	s_mov_b64 s[4:5], 0
.LBB23_1046:
	s_andn2_b64 vcc, exec, s[4:5]
	s_cbranch_vccnz .LBB23_1048
; %bb.1047:
	v_cvt_f16_f32_e32 v1, v20
	global_store_dword v[2:3], v1, off
.LBB23_1048:
	s_mov_b64 s[4:5], 0
.LBB23_1049:
	s_andn2_b64 vcc, exec, s[4:5]
	s_cbranch_vccnz .LBB23_1058
; %bb.1050:
	v_mov_b32_e32 v1, 6
	v_cmp_lt_i16_sdwa s[8:9], s16, v1 src0_sel:BYTE_0 src1_sel:DWORD
	s_mov_b64 s[4:5], -1
	s_and_b64 vcc, exec, s[8:9]
	s_cbranch_vccnz .LBB23_1056
; %bb.1051:
	v_cmp_gt_i16_sdwa s[8:9], s16, v1 src0_sel:BYTE_0 src1_sel:DWORD
	s_and_b64 vcc, exec, s[8:9]
	s_cbranch_vccz .LBB23_1053
; %bb.1052:
	v_cvt_f64_f32_e32 v[4:5], v20
	global_store_dwordx2 v[2:3], v[4:5], off
	s_mov_b64 s[4:5], 0
.LBB23_1053:
	s_andn2_b64 vcc, exec, s[4:5]
	s_cbranch_vccnz .LBB23_1055
; %bb.1054:
	global_store_dword v[2:3], v20, off
.LBB23_1055:
	s_mov_b64 s[4:5], 0
.LBB23_1056:
	s_andn2_b64 vcc, exec, s[4:5]
	s_cbranch_vccnz .LBB23_1058
; %bb.1057:
	v_cvt_f16_f32_e32 v1, v20
	global_store_short v[2:3], v1, off
.LBB23_1058:
	s_mov_b64 s[4:5], 0
.LBB23_1059:
	s_andn2_b64 vcc, exec, s[4:5]
	s_cbranch_vccnz .LBB23_1075
; %bb.1060:
	v_mov_b32_e32 v1, 2
	v_cmp_lt_i16_sdwa s[8:9], s16, v1 src0_sel:BYTE_0 src1_sel:DWORD
	s_mov_b64 s[4:5], -1
	s_and_b64 vcc, exec, s[8:9]
	s_cbranch_vccnz .LBB23_1070
; %bb.1061:
	v_mov_b32_e32 v1, 3
	v_cmp_lt_i16_sdwa s[8:9], s16, v1 src0_sel:BYTE_0 src1_sel:DWORD
	s_and_b64 vcc, exec, s[8:9]
	s_cbranch_vccnz .LBB23_1067
; %bb.1062:
	v_cmp_gt_i16_sdwa s[8:9], s16, v1 src0_sel:BYTE_0 src1_sel:DWORD
	s_and_b64 vcc, exec, s[8:9]
	s_cbranch_vccz .LBB23_1064
; %bb.1063:
	v_trunc_f32_e32 v1, v20
	s_mov_b32 s4, 0x2f800000
	v_mul_f32_e64 v4, |v1|, s4
	v_floor_f32_e32 v4, v4
	s_mov_b32 s4, 0xcf800000
	v_cvt_u32_f32_e32 v5, v4
	v_fma_f32 v4, v4, s4, |v1|
	v_cvt_u32_f32_e32 v4, v4
	v_ashrrev_i32_e32 v1, 31, v1
	v_xor_b32_e32 v5, v5, v1
	s_mov_b64 s[4:5], 0
	v_xor_b32_e32 v4, v4, v1
	v_sub_co_u32_e32 v4, vcc, v4, v1
	v_subb_co_u32_e32 v5, vcc, v5, v1, vcc
	global_store_dwordx2 v[2:3], v[4:5], off
.LBB23_1064:
	s_andn2_b64 vcc, exec, s[4:5]
	s_cbranch_vccnz .LBB23_1066
; %bb.1065:
	v_cvt_i32_f32_e32 v1, v20
	global_store_dword v[2:3], v1, off
.LBB23_1066:
	s_mov_b64 s[4:5], 0
.LBB23_1067:
	s_andn2_b64 vcc, exec, s[4:5]
	s_cbranch_vccnz .LBB23_1069
; %bb.1068:
	v_cvt_i32_f32_e32 v1, v20
	global_store_short v[2:3], v1, off
.LBB23_1069:
	s_mov_b64 s[4:5], 0
.LBB23_1070:
	s_andn2_b64 vcc, exec, s[4:5]
	s_cbranch_vccnz .LBB23_1075
; %bb.1071:
	v_mov_b32_e32 v1, 0
	v_cmp_gt_i16_sdwa s[8:9], s16, v1 src0_sel:BYTE_0 src1_sel:DWORD
	s_mov_b64 s[4:5], -1
	s_and_b64 vcc, exec, s[8:9]
	s_cbranch_vccz .LBB23_1073
; %bb.1072:
	v_cvt_i32_f32_e32 v1, v20
	s_mov_b64 s[4:5], 0
	global_store_byte v[2:3], v1, off
.LBB23_1073:
	s_andn2_b64 vcc, exec, s[4:5]
	s_cbranch_vccnz .LBB23_1075
; %bb.1074:
	v_trunc_f32_e32 v1, v20
	s_mov_b32 s4, 0x2f800000
	v_mul_f32_e64 v4, |v1|, s4
	v_floor_f32_e32 v4, v4
	s_mov_b32 s4, 0xcf800000
	v_fma_f32 v4, v4, s4, |v1|
	v_cvt_u32_f32_e32 v4, v4
	v_ashrrev_i32_e32 v1, 31, v1
	v_xor_b32_e32 v4, v4, v1
	v_sub_u32_e32 v1, v4, v1
	global_store_byte v[2:3], v1, off
.LBB23_1075:
	s_branch .LBB23_882
.LBB23_1076:
	s_mov_b64 s[4:5], 0
	s_mov_b64 s[8:9], 0
                                        ; implicit-def: $vgpr4
                                        ; implicit-def: $vgpr2_vgpr3
.LBB23_1077:
	s_and_b64 s[48:49], s[8:9], exec
	s_andn2_b64 s[8:9], s[40:41], exec
	s_and_b64 s[6:7], s[6:7], exec
	s_and_b64 s[4:5], s[4:5], exec
	s_or_b64 s[40:41], s[8:9], s[6:7]
.LBB23_1078:
	s_or_b64 exec, exec, s[42:43]
	s_and_saveexec_b64 s[6:7], s[40:41]
	s_cbranch_execz .LBB23_1081
; %bb.1079:
	; divergent unreachable
	s_or_b64 exec, exec, s[6:7]
	s_and_saveexec_b64 s[6:7], s[48:49]
	s_xor_b64 s[6:7], exec, s[6:7]
	s_cbranch_execnz .LBB23_1082
.LBB23_1080:
	s_or_b64 exec, exec, s[6:7]
	s_and_saveexec_b64 s[6:7], s[4:5]
	s_cbranch_execnz .LBB23_1083
	s_branch .LBB23_1120
.LBB23_1081:
	s_or_b64 exec, exec, s[6:7]
	s_and_saveexec_b64 s[6:7], s[48:49]
	s_xor_b64 s[6:7], exec, s[6:7]
	s_cbranch_execz .LBB23_1080
.LBB23_1082:
	v_cmp_neq_f32_e32 vcc, 0, v0
	v_cndmask_b32_e64 v1, 0, 1, vcc
	global_store_byte v[2:3], v1, off
	s_or_b64 exec, exec, s[6:7]
	s_and_saveexec_b64 s[6:7], s[4:5]
	s_cbranch_execz .LBB23_1120
.LBB23_1083:
	v_cmp_gt_i16_e32 vcc, 5, v4
	s_mov_b64 s[4:5], -1
	s_cbranch_vccnz .LBB23_1104
; %bb.1084:
	v_cmp_gt_i16_e32 vcc, 8, v4
	s_cbranch_vccnz .LBB23_1094
; %bb.1085:
	v_cmp_gt_i16_e32 vcc, 9, v4
	s_cbranch_vccnz .LBB23_1091
; %bb.1086:
	v_cmp_lt_i16_e32 vcc, 9, v4
	s_cbranch_vccz .LBB23_1088
; %bb.1087:
	v_mov_b32_e32 v8, 0
	v_cvt_f64_f32_e32 v[6:7], v0
	v_mov_b32_e32 v9, v8
	global_store_dwordx4 v[2:3], v[6:9], off
	s_mov_b64 s[4:5], 0
.LBB23_1088:
	s_andn2_b64 vcc, exec, s[4:5]
	s_cbranch_vccnz .LBB23_1090
; %bb.1089:
	v_mov_b32_e32 v1, 0
	global_store_dwordx2 v[2:3], v[0:1], off
.LBB23_1090:
	s_mov_b64 s[4:5], 0
.LBB23_1091:
	s_andn2_b64 vcc, exec, s[4:5]
	s_cbranch_vccnz .LBB23_1093
; %bb.1092:
	v_cvt_f16_f32_e32 v1, v0
	global_store_dword v[2:3], v1, off
.LBB23_1093:
	s_mov_b64 s[4:5], 0
.LBB23_1094:
	s_andn2_b64 vcc, exec, s[4:5]
	s_cbranch_vccnz .LBB23_1103
; %bb.1095:
	v_cmp_gt_i16_e32 vcc, 6, v4
	s_mov_b64 s[4:5], -1
	s_cbranch_vccnz .LBB23_1101
; %bb.1096:
	v_cmp_lt_i16_e32 vcc, 6, v4
	s_cbranch_vccz .LBB23_1098
; %bb.1097:
	v_cvt_f64_f32_e32 v[6:7], v0
	global_store_dwordx2 v[2:3], v[6:7], off
	s_mov_b64 s[4:5], 0
.LBB23_1098:
	s_andn2_b64 vcc, exec, s[4:5]
	s_cbranch_vccnz .LBB23_1100
; %bb.1099:
	global_store_dword v[2:3], v0, off
.LBB23_1100:
	s_mov_b64 s[4:5], 0
.LBB23_1101:
	s_andn2_b64 vcc, exec, s[4:5]
	s_cbranch_vccnz .LBB23_1103
; %bb.1102:
	v_cvt_f16_f32_e32 v1, v0
	global_store_short v[2:3], v1, off
.LBB23_1103:
	s_mov_b64 s[4:5], 0
.LBB23_1104:
	s_andn2_b64 vcc, exec, s[4:5]
	s_cbranch_vccnz .LBB23_1120
; %bb.1105:
	v_cmp_gt_i16_e32 vcc, 2, v4
	s_mov_b64 s[4:5], -1
	s_cbranch_vccnz .LBB23_1115
; %bb.1106:
	v_cmp_gt_i16_e32 vcc, 3, v4
	s_cbranch_vccnz .LBB23_1112
; %bb.1107:
	v_cmp_lt_i16_e32 vcc, 3, v4
	s_cbranch_vccz .LBB23_1109
; %bb.1108:
	v_trunc_f32_e32 v1, v0
	s_mov_b32 s4, 0x2f800000
	v_mul_f32_e64 v5, |v1|, s4
	v_floor_f32_e32 v5, v5
	s_mov_b32 s4, 0xcf800000
	v_cvt_u32_f32_e32 v6, v5
	v_fma_f32 v5, v5, s4, |v1|
	v_cvt_u32_f32_e32 v5, v5
	v_ashrrev_i32_e32 v1, 31, v1
	v_xor_b32_e32 v7, v6, v1
	s_mov_b64 s[4:5], 0
	v_xor_b32_e32 v5, v5, v1
	v_sub_co_u32_e32 v6, vcc, v5, v1
	v_subb_co_u32_e32 v7, vcc, v7, v1, vcc
	global_store_dwordx2 v[2:3], v[6:7], off
.LBB23_1109:
	s_andn2_b64 vcc, exec, s[4:5]
	s_cbranch_vccnz .LBB23_1111
; %bb.1110:
	v_cvt_i32_f32_e32 v1, v0
	global_store_dword v[2:3], v1, off
.LBB23_1111:
	s_mov_b64 s[4:5], 0
.LBB23_1112:
	s_andn2_b64 vcc, exec, s[4:5]
	s_cbranch_vccnz .LBB23_1114
; %bb.1113:
	v_cvt_i32_f32_e32 v1, v0
	global_store_short v[2:3], v1, off
.LBB23_1114:
	s_mov_b64 s[4:5], 0
.LBB23_1115:
	s_andn2_b64 vcc, exec, s[4:5]
	s_cbranch_vccnz .LBB23_1120
; %bb.1116:
	v_cmp_lt_i16_e32 vcc, 0, v4
	s_mov_b64 s[4:5], -1
	s_cbranch_vccz .LBB23_1118
; %bb.1117:
	v_cvt_i32_f32_e32 v1, v0
	s_mov_b64 s[4:5], 0
	global_store_byte v[2:3], v1, off
.LBB23_1118:
	s_andn2_b64 vcc, exec, s[4:5]
	s_cbranch_vccnz .LBB23_1120
; %bb.1119:
	v_trunc_f32_e32 v0, v0
	s_mov_b32 s4, 0x2f800000
	v_mul_f32_e64 v1, |v0|, s4
	v_floor_f32_e32 v1, v1
	s_mov_b32 s4, 0xcf800000
	v_fma_f32 v1, v1, s4, |v0|
	v_cvt_u32_f32_e32 v1, v1
	v_ashrrev_i32_e32 v0, 31, v0
	v_xor_b32_e32 v1, v1, v0
	v_sub_u32_e32 v0, v1, v0
	global_store_byte v[2:3], v0, off
	s_endpgm
.LBB23_1120:
	s_endpgm
.LBB23_1121:
	s_or_saveexec_b64 s[14:15], s[14:15]
                                        ; implicit-def: $sgpr17
	s_xor_b64 exec, exec, s[14:15]
	s_cbranch_execz .LBB23_988
.LBB23_1122:
	s_mov_b32 s17, 0x46000000
	v_add_f32_e64 v1, |v20|, s17
	v_and_b32_e32 v1, 0xff, v1
	v_cmp_ne_u32_e32 vcc, 0, v1
	s_andn2_b64 s[12:13], s[12:13], exec
	s_and_b64 s[18:19], vcc, exec
	s_mov_b32 s17, 0
	s_or_b64 s[12:13], s[12:13], s[18:19]
	s_or_b64 exec, exec, s[14:15]
	v_mov_b32_e32 v4, s17
	s_and_saveexec_b64 s[14:15], s[12:13]
	s_cbranch_execnz .LBB23_989
	s_branch .LBB23_990
.LBB23_1123:
	s_trap 2
	s_or_b64 s[6:7], s[6:7], exec
	s_cbranch_execz .LBB23_1036
	s_branch .LBB23_1037
.LBB23_1124:
	s_or_saveexec_b64 s[10:11], s[10:11]
                                        ; implicit-def: $sgpr12
	s_xor_b64 exec, exec, s[10:11]
	s_cbranch_execz .LBB23_341
.LBB23_1125:
	s_mov_b32 s12, 0x46000000
	v_add_f32_e64 v1, |v0|, s12
	v_and_b32_e32 v1, 0xff, v1
	v_cmp_ne_u32_e32 vcc, 0, v1
	s_andn2_b64 s[8:9], s[8:9], exec
	s_and_b64 s[14:15], vcc, exec
	s_mov_b32 s12, 0
	s_or_b64 s[8:9], s[8:9], s[14:15]
	s_or_b64 exec, exec, s[10:11]
	v_mov_b32_e32 v4, s12
	s_and_saveexec_b64 s[10:11], s[8:9]
	s_cbranch_execnz .LBB23_342
	s_branch .LBB23_343
.LBB23_1126:
	s_or_saveexec_b64 s[14:15], s[14:15]
                                        ; implicit-def: $sgpr16
	s_xor_b64 exec, exec, s[14:15]
	s_cbranch_execz .LBB23_911
.LBB23_1127:
	s_mov_b32 s16, 0x46000000
	v_add_f32_e64 v1, |v0|, s16
	v_and_b32_e32 v1, 0xff, v1
	v_cmp_ne_u32_e32 vcc, 0, v1
	s_andn2_b64 s[12:13], s[12:13], exec
	s_and_b64 s[18:19], vcc, exec
	s_mov_b32 s16, 0
	s_or_b64 s[12:13], s[12:13], s[18:19]
	s_or_b64 exec, exec, s[14:15]
	v_mov_b32_e32 v5, s16
	s_and_saveexec_b64 s[14:15], s[12:13]
	s_cbranch_execnz .LBB23_912
	s_branch .LBB23_913
.LBB23_1128:
	s_or_saveexec_b64 s[12:13], s[12:13]
                                        ; implicit-def: $sgpr14
	s_xor_b64 exec, exec, s[12:13]
	s_cbranch_execz .LBB23_1001
.LBB23_1129:
	s_mov_b32 s14, 0x42800000
	v_add_f32_e64 v1, |v20|, s14
	v_and_b32_e32 v1, 0xff, v1
	v_cmp_ne_u32_e32 vcc, 0, v1
	s_andn2_b64 s[10:11], s[10:11], exec
	s_and_b64 s[18:19], vcc, exec
	s_mov_b32 s14, 0
	s_or_b64 s[10:11], s[10:11], s[18:19]
	s_or_b64 exec, exec, s[12:13]
	v_mov_b32_e32 v4, s14
	s_and_saveexec_b64 s[12:13], s[10:11]
	s_cbranch_execnz .LBB23_1002
	s_branch .LBB23_1003
.LBB23_1130:
	s_mov_b64 s[8:9], 0
	s_or_b64 s[6:7], s[6:7], exec
	s_trap 2
	s_branch .LBB23_957
.LBB23_1131:
	s_or_saveexec_b64 s[10:11], s[10:11]
                                        ; implicit-def: $sgpr12
	s_xor_b64 exec, exec, s[10:11]
	s_cbranch_execz .LBB23_354
.LBB23_1132:
	s_mov_b32 s12, 0x42800000
	v_add_f32_e64 v1, |v0|, s12
	v_and_b32_e32 v1, 0xff, v1
	v_cmp_ne_u32_e32 vcc, 0, v1
	s_andn2_b64 s[8:9], s[8:9], exec
	s_and_b64 s[14:15], vcc, exec
	s_mov_b32 s12, 0
	s_or_b64 s[8:9], s[8:9], s[14:15]
	s_or_b64 exec, exec, s[10:11]
	v_mov_b32_e32 v4, s12
	s_and_saveexec_b64 s[10:11], s[8:9]
	s_cbranch_execnz .LBB23_355
	s_branch .LBB23_356
.LBB23_1133:
	s_or_saveexec_b64 s[10:11], s[10:11]
                                        ; implicit-def: $sgpr12
	s_xor_b64 exec, exec, s[10:11]
	s_cbranch_execz .LBB23_480
.LBB23_1134:
	s_mov_b32 s12, 0x46000000
	v_add_f32_e64 v1, |v0|, s12
	v_and_b32_e32 v1, 0xff, v1
	v_cmp_ne_u32_e32 vcc, 0, v1
	s_andn2_b64 s[8:9], s[8:9], exec
	s_and_b64 s[14:15], vcc, exec
	s_mov_b32 s12, 0
	s_or_b64 s[8:9], s[8:9], s[14:15]
	s_or_b64 exec, exec, s[10:11]
	v_mov_b32_e32 v5, s12
	s_and_saveexec_b64 s[10:11], s[8:9]
	s_cbranch_execnz .LBB23_481
	s_branch .LBB23_482
.LBB23_1135:
	s_or_saveexec_b64 s[12:13], s[12:13]
                                        ; implicit-def: $sgpr14
	s_xor_b64 exec, exec, s[12:13]
	s_cbranch_execz .LBB23_923
.LBB23_1136:
	s_mov_b32 s14, 0x42800000
	v_add_f32_e64 v1, |v0|, s14
	v_and_b32_e32 v1, 0xff, v1
	v_cmp_ne_u32_e32 vcc, 0, v1
	s_andn2_b64 s[10:11], s[10:11], exec
	s_and_b64 s[16:17], vcc, exec
	s_mov_b32 s14, 0
	s_or_b64 s[10:11], s[10:11], s[16:17]
	s_or_b64 exec, exec, s[12:13]
	v_mov_b32_e32 v5, s14
	s_and_saveexec_b64 s[12:13], s[10:11]
	s_cbranch_execnz .LBB23_924
	s_branch .LBB23_925
.LBB23_1137:
	s_or_saveexec_b64 s[12:13], s[12:13]
                                        ; implicit-def: $sgpr14
	s_xor_b64 exec, exec, s[12:13]
	s_cbranch_execz .LBB23_492
.LBB23_1138:
	s_mov_b32 s14, 0x42800000
	v_add_f32_e64 v1, |v0|, s14
	v_and_b32_e32 v1, 0xff, v1
	v_cmp_ne_u32_e32 vcc, 0, v1
	s_andn2_b64 s[10:11], s[10:11], exec
	s_and_b64 s[16:17], vcc, exec
	s_mov_b32 s14, 0
	s_or_b64 s[10:11], s[10:11], s[16:17]
	s_or_b64 exec, exec, s[12:13]
	v_mov_b32_e32 v5, s14
	s_and_saveexec_b64 s[12:13], s[10:11]
	s_cbranch_execnz .LBB23_493
	s_branch .LBB23_494
	.section	.rodata,"a",@progbits
	.p2align	6, 0x0
	.amdhsa_kernel _ZN2at6native32elementwise_kernel_manual_unrollILi128ELi4EZNS0_15gpu_kernel_implIZZZNS0_12_GLOBAL__N_130modified_bessel_k0_kernel_cudaERNS_18TensorIteratorBaseEENKUlvE_clEvENKUlvE0_clEvEUlfE_EEvS5_RKT_EUlibE0_EEviT1_
		.amdhsa_group_segment_fixed_size 0
		.amdhsa_private_segment_fixed_size 0
		.amdhsa_kernarg_size 360
		.amdhsa_user_sgpr_count 8
		.amdhsa_user_sgpr_private_segment_buffer 1
		.amdhsa_user_sgpr_dispatch_ptr 0
		.amdhsa_user_sgpr_queue_ptr 0
		.amdhsa_user_sgpr_kernarg_segment_ptr 1
		.amdhsa_user_sgpr_dispatch_id 0
		.amdhsa_user_sgpr_flat_scratch_init 1
		.amdhsa_user_sgpr_kernarg_preload_length 0
		.amdhsa_user_sgpr_kernarg_preload_offset 0
		.amdhsa_user_sgpr_private_segment_size 0
		.amdhsa_uses_dynamic_stack 0
		.amdhsa_system_sgpr_private_segment_wavefront_offset 0
		.amdhsa_system_sgpr_workgroup_id_x 1
		.amdhsa_system_sgpr_workgroup_id_y 0
		.amdhsa_system_sgpr_workgroup_id_z 0
		.amdhsa_system_sgpr_workgroup_info 0
		.amdhsa_system_vgpr_workitem_id 0
		.amdhsa_next_free_vgpr 38
		.amdhsa_next_free_sgpr 78
		.amdhsa_accum_offset 40
		.amdhsa_reserve_vcc 1
		.amdhsa_reserve_flat_scratch 1
		.amdhsa_float_round_mode_32 0
		.amdhsa_float_round_mode_16_64 0
		.amdhsa_float_denorm_mode_32 3
		.amdhsa_float_denorm_mode_16_64 3
		.amdhsa_dx10_clamp 1
		.amdhsa_ieee_mode 1
		.amdhsa_fp16_overflow 0
		.amdhsa_tg_split 0
		.amdhsa_exception_fp_ieee_invalid_op 0
		.amdhsa_exception_fp_denorm_src 0
		.amdhsa_exception_fp_ieee_div_zero 0
		.amdhsa_exception_fp_ieee_overflow 0
		.amdhsa_exception_fp_ieee_underflow 0
		.amdhsa_exception_fp_ieee_inexact 0
		.amdhsa_exception_int_div_zero 0
	.end_amdhsa_kernel
	.section	.text._ZN2at6native32elementwise_kernel_manual_unrollILi128ELi4EZNS0_15gpu_kernel_implIZZZNS0_12_GLOBAL__N_130modified_bessel_k0_kernel_cudaERNS_18TensorIteratorBaseEENKUlvE_clEvENKUlvE0_clEvEUlfE_EEvS5_RKT_EUlibE0_EEviT1_,"axG",@progbits,_ZN2at6native32elementwise_kernel_manual_unrollILi128ELi4EZNS0_15gpu_kernel_implIZZZNS0_12_GLOBAL__N_130modified_bessel_k0_kernel_cudaERNS_18TensorIteratorBaseEENKUlvE_clEvENKUlvE0_clEvEUlfE_EEvS5_RKT_EUlibE0_EEviT1_,comdat
.Lfunc_end23:
	.size	_ZN2at6native32elementwise_kernel_manual_unrollILi128ELi4EZNS0_15gpu_kernel_implIZZZNS0_12_GLOBAL__N_130modified_bessel_k0_kernel_cudaERNS_18TensorIteratorBaseEENKUlvE_clEvENKUlvE0_clEvEUlfE_EEvS5_RKT_EUlibE0_EEviT1_, .Lfunc_end23-_ZN2at6native32elementwise_kernel_manual_unrollILi128ELi4EZNS0_15gpu_kernel_implIZZZNS0_12_GLOBAL__N_130modified_bessel_k0_kernel_cudaERNS_18TensorIteratorBaseEENKUlvE_clEvENKUlvE0_clEvEUlfE_EEvS5_RKT_EUlibE0_EEviT1_
                                        ; -- End function
	.section	.AMDGPU.csdata,"",@progbits
; Kernel info:
; codeLenInByte = 24136
; NumSgprs: 84
; NumVgprs: 38
; NumAgprs: 0
; TotalNumVgprs: 38
; ScratchSize: 0
; MemoryBound: 0
; FloatMode: 240
; IeeeMode: 1
; LDSByteSize: 0 bytes/workgroup (compile time only)
; SGPRBlocks: 10
; VGPRBlocks: 4
; NumSGPRsForWavesPerEU: 84
; NumVGPRsForWavesPerEU: 38
; AccumOffset: 40
; Occupancy: 8
; WaveLimiterHint : 1
; COMPUTE_PGM_RSRC2:SCRATCH_EN: 0
; COMPUTE_PGM_RSRC2:USER_SGPR: 8
; COMPUTE_PGM_RSRC2:TRAP_HANDLER: 0
; COMPUTE_PGM_RSRC2:TGID_X_EN: 1
; COMPUTE_PGM_RSRC2:TGID_Y_EN: 0
; COMPUTE_PGM_RSRC2:TGID_Z_EN: 0
; COMPUTE_PGM_RSRC2:TIDIG_COMP_CNT: 0
; COMPUTE_PGM_RSRC3_GFX90A:ACCUM_OFFSET: 9
; COMPUTE_PGM_RSRC3_GFX90A:TG_SPLIT: 0
	.text
	.p2alignl 6, 3212836864
	.fill 256, 4, 3212836864
	.type	__hip_cuid_34135041acfe5117,@object ; @__hip_cuid_34135041acfe5117
	.section	.bss,"aw",@nobits
	.globl	__hip_cuid_34135041acfe5117
__hip_cuid_34135041acfe5117:
	.byte	0                               ; 0x0
	.size	__hip_cuid_34135041acfe5117, 1

	.ident	"AMD clang version 19.0.0git (https://github.com/RadeonOpenCompute/llvm-project roc-6.4.0 25133 c7fe45cf4b819c5991fe208aaa96edf142730f1d)"
	.section	".note.GNU-stack","",@progbits
	.addrsig
	.addrsig_sym __hip_cuid_34135041acfe5117
	.amdgpu_metadata
---
amdhsa.kernels:
  - .agpr_count:     0
    .args:
      - .offset:         0
        .size:           4
        .value_kind:     by_value
      - .offset:         4
        .size:           1
        .value_kind:     by_value
      - .offset:         8
        .size:           16
        .value_kind:     by_value
    .group_segment_fixed_size: 0
    .kernarg_segment_align: 8
    .kernarg_segment_size: 24
    .language:       OpenCL C
    .language_version:
      - 2
      - 0
    .max_flat_workgroup_size: 256
    .name:           _ZN2at6native29vectorized_elementwise_kernelILi16EZZZNS0_12_GLOBAL__N_130modified_bessel_k0_kernel_cudaERNS_18TensorIteratorBaseEENKUlvE_clEvENKUlvE_clEvEUldE_St5arrayIPcLm2EEEEviT0_T1_
    .private_segment_fixed_size: 0
    .sgpr_count:     39
    .sgpr_spill_count: 0
    .symbol:         _ZN2at6native29vectorized_elementwise_kernelILi16EZZZNS0_12_GLOBAL__N_130modified_bessel_k0_kernel_cudaERNS_18TensorIteratorBaseEENKUlvE_clEvENKUlvE_clEvEUldE_St5arrayIPcLm2EEEEviT0_T1_.kd
    .uniform_work_group_size: 1
    .uses_dynamic_stack: false
    .vgpr_count:     38
    .vgpr_spill_count: 0
    .wavefront_size: 64
  - .agpr_count:     0
    .args:
      - .offset:         0
        .size:           4
        .value_kind:     by_value
      - .offset:         4
        .size:           1
        .value_kind:     by_value
      - .offset:         8
        .size:           16
        .value_kind:     by_value
    .group_segment_fixed_size: 0
    .kernarg_segment_align: 8
    .kernarg_segment_size: 24
    .language:       OpenCL C
    .language_version:
      - 2
      - 0
    .max_flat_workgroup_size: 256
    .name:           _ZN2at6native29vectorized_elementwise_kernelILi8EZZZNS0_12_GLOBAL__N_130modified_bessel_k0_kernel_cudaERNS_18TensorIteratorBaseEENKUlvE_clEvENKUlvE_clEvEUldE_St5arrayIPcLm2EEEEviT0_T1_
    .private_segment_fixed_size: 0
    .sgpr_count:     39
    .sgpr_spill_count: 0
    .symbol:         _ZN2at6native29vectorized_elementwise_kernelILi8EZZZNS0_12_GLOBAL__N_130modified_bessel_k0_kernel_cudaERNS_18TensorIteratorBaseEENKUlvE_clEvENKUlvE_clEvEUldE_St5arrayIPcLm2EEEEviT0_T1_.kd
    .uniform_work_group_size: 1
    .uses_dynamic_stack: false
    .vgpr_count:     38
    .vgpr_spill_count: 0
    .wavefront_size: 64
  - .agpr_count:     0
    .args:
      - .offset:         0
        .size:           4
        .value_kind:     by_value
      - .offset:         4
        .size:           1
        .value_kind:     by_value
      - .offset:         8
        .size:           16
        .value_kind:     by_value
    .group_segment_fixed_size: 0
    .kernarg_segment_align: 8
    .kernarg_segment_size: 24
    .language:       OpenCL C
    .language_version:
      - 2
      - 0
    .max_flat_workgroup_size: 256
    .name:           _ZN2at6native29vectorized_elementwise_kernelILi4EZZZNS0_12_GLOBAL__N_130modified_bessel_k0_kernel_cudaERNS_18TensorIteratorBaseEENKUlvE_clEvENKUlvE_clEvEUldE_St5arrayIPcLm2EEEEviT0_T1_
    .private_segment_fixed_size: 0
    .sgpr_count:     39
    .sgpr_spill_count: 0
    .symbol:         _ZN2at6native29vectorized_elementwise_kernelILi4EZZZNS0_12_GLOBAL__N_130modified_bessel_k0_kernel_cudaERNS_18TensorIteratorBaseEENKUlvE_clEvENKUlvE_clEvEUldE_St5arrayIPcLm2EEEEviT0_T1_.kd
    .uniform_work_group_size: 1
    .uses_dynamic_stack: false
    .vgpr_count:     38
    .vgpr_spill_count: 0
    .wavefront_size: 64
  - .agpr_count:     0
    .args:
      - .offset:         0
        .size:           4
        .value_kind:     by_value
      - .offset:         4
        .size:           1
        .value_kind:     by_value
      - .offset:         8
        .size:           16
        .value_kind:     by_value
    .group_segment_fixed_size: 0
    .kernarg_segment_align: 8
    .kernarg_segment_size: 24
    .language:       OpenCL C
    .language_version:
      - 2
      - 0
    .max_flat_workgroup_size: 256
    .name:           _ZN2at6native29vectorized_elementwise_kernelILi2EZZZNS0_12_GLOBAL__N_130modified_bessel_k0_kernel_cudaERNS_18TensorIteratorBaseEENKUlvE_clEvENKUlvE_clEvEUldE_St5arrayIPcLm2EEEEviT0_T1_
    .private_segment_fixed_size: 0
    .sgpr_count:     39
    .sgpr_spill_count: 0
    .symbol:         _ZN2at6native29vectorized_elementwise_kernelILi2EZZZNS0_12_GLOBAL__N_130modified_bessel_k0_kernel_cudaERNS_18TensorIteratorBaseEENKUlvE_clEvENKUlvE_clEvEUldE_St5arrayIPcLm2EEEEviT0_T1_.kd
    .uniform_work_group_size: 1
    .uses_dynamic_stack: false
    .vgpr_count:     38
    .vgpr_spill_count: 0
    .wavefront_size: 64
  - .agpr_count:     0
    .args:
      - .offset:         0
        .size:           4
        .value_kind:     by_value
      - .offset:         4
        .size:           1
        .value_kind:     by_value
      - .offset:         8
        .size:           16
        .value_kind:     by_value
      - .offset:         24
        .size:           1
        .value_kind:     by_value
      - .offset:         25
        .size:           1
        .value_kind:     by_value
      - .offset:         26
        .size:           1
        .value_kind:     by_value
      - .offset:         27
        .size:           1
        .value_kind:     by_value
    .group_segment_fixed_size: 0
    .kernarg_segment_align: 8
    .kernarg_segment_size: 28
    .language:       OpenCL C
    .language_version:
      - 2
      - 0
    .max_flat_workgroup_size: 256
    .name:           _ZN2at6native27unrolled_elementwise_kernelIZZZNS0_12_GLOBAL__N_130modified_bessel_k0_kernel_cudaERNS_18TensorIteratorBaseEENKUlvE_clEvENKUlvE_clEvEUldE_St5arrayIPcLm2EELi4E23TrivialOffsetCalculatorILi1EjESC_NS0_6memory15LoadWithoutCastENSD_16StoreWithoutCastEEEviT_T0_T2_T3_T4_T5_
    .private_segment_fixed_size: 0
    .sgpr_count:     39
    .sgpr_spill_count: 0
    .symbol:         _ZN2at6native27unrolled_elementwise_kernelIZZZNS0_12_GLOBAL__N_130modified_bessel_k0_kernel_cudaERNS_18TensorIteratorBaseEENKUlvE_clEvENKUlvE_clEvEUldE_St5arrayIPcLm2EELi4E23TrivialOffsetCalculatorILi1EjESC_NS0_6memory15LoadWithoutCastENSD_16StoreWithoutCastEEEviT_T0_T2_T3_T4_T5_.kd
    .uniform_work_group_size: 1
    .uses_dynamic_stack: false
    .vgpr_count:     38
    .vgpr_spill_count: 0
    .wavefront_size: 64
  - .agpr_count:     0
    .args:
      - .offset:         0
        .size:           4
        .value_kind:     by_value
      - .offset:         8
        .size:           352
        .value_kind:     by_value
    .group_segment_fixed_size: 0
    .kernarg_segment_align: 8
    .kernarg_segment_size: 360
    .language:       OpenCL C
    .language_version:
      - 2
      - 0
    .max_flat_workgroup_size: 128
    .name:           _ZN2at6native32elementwise_kernel_manual_unrollILi128ELi4EZNS0_22gpu_kernel_impl_nocastIZZZNS0_12_GLOBAL__N_130modified_bessel_k0_kernel_cudaERNS_18TensorIteratorBaseEENKUlvE_clEvENKUlvE_clEvEUldE_EEvS5_RKT_EUlibE_EEviT1_
    .private_segment_fixed_size: 0
    .sgpr_count:     64
    .sgpr_spill_count: 0
    .symbol:         _ZN2at6native32elementwise_kernel_manual_unrollILi128ELi4EZNS0_22gpu_kernel_impl_nocastIZZZNS0_12_GLOBAL__N_130modified_bessel_k0_kernel_cudaERNS_18TensorIteratorBaseEENKUlvE_clEvENKUlvE_clEvEUldE_EEvS5_RKT_EUlibE_EEviT1_.kd
    .uniform_work_group_size: 1
    .uses_dynamic_stack: false
    .vgpr_count:     36
    .vgpr_spill_count: 0
    .wavefront_size: 64
  - .agpr_count:     0
    .args:
      - .offset:         0
        .size:           4
        .value_kind:     by_value
      - .offset:         8
        .size:           32
        .value_kind:     by_value
    .group_segment_fixed_size: 0
    .kernarg_segment_align: 8
    .kernarg_segment_size: 40
    .language:       OpenCL C
    .language_version:
      - 2
      - 0
    .max_flat_workgroup_size: 128
    .name:           _ZN2at6native32elementwise_kernel_manual_unrollILi128ELi4EZNS0_15gpu_kernel_implIZZZNS0_12_GLOBAL__N_130modified_bessel_k0_kernel_cudaERNS_18TensorIteratorBaseEENKUlvE_clEvENKUlvE_clEvEUldE_EEvS5_RKT_EUlibE_EEviT1_
    .private_segment_fixed_size: 0
    .sgpr_count:     62
    .sgpr_spill_count: 0
    .symbol:         _ZN2at6native32elementwise_kernel_manual_unrollILi128ELi4EZNS0_15gpu_kernel_implIZZZNS0_12_GLOBAL__N_130modified_bessel_k0_kernel_cudaERNS_18TensorIteratorBaseEENKUlvE_clEvENKUlvE_clEvEUldE_EEvS5_RKT_EUlibE_EEviT1_.kd
    .uniform_work_group_size: 1
    .uses_dynamic_stack: false
    .vgpr_count:     31
    .vgpr_spill_count: 0
    .wavefront_size: 64
  - .agpr_count:     0
    .args:
      - .offset:         0
        .size:           4
        .value_kind:     by_value
      - .offset:         8
        .size:           352
        .value_kind:     by_value
    .group_segment_fixed_size: 0
    .kernarg_segment_align: 8
    .kernarg_segment_size: 360
    .language:       OpenCL C
    .language_version:
      - 2
      - 0
    .max_flat_workgroup_size: 128
    .name:           _ZN2at6native32elementwise_kernel_manual_unrollILi128ELi4EZNS0_15gpu_kernel_implIZZZNS0_12_GLOBAL__N_130modified_bessel_k0_kernel_cudaERNS_18TensorIteratorBaseEENKUlvE_clEvENKUlvE_clEvEUldE_EEvS5_RKT_EUlibE0_EEviT1_
    .private_segment_fixed_size: 0
    .sgpr_count:     84
    .sgpr_spill_count: 0
    .symbol:         _ZN2at6native32elementwise_kernel_manual_unrollILi128ELi4EZNS0_15gpu_kernel_implIZZZNS0_12_GLOBAL__N_130modified_bessel_k0_kernel_cudaERNS_18TensorIteratorBaseEENKUlvE_clEvENKUlvE_clEvEUldE_EEvS5_RKT_EUlibE0_EEviT1_.kd
    .uniform_work_group_size: 1
    .uses_dynamic_stack: false
    .vgpr_count:     40
    .vgpr_spill_count: 0
    .wavefront_size: 64
  - .agpr_count:     0
    .args:
      - .offset:         0
        .size:           4
        .value_kind:     by_value
      - .offset:         4
        .size:           1
        .value_kind:     by_value
      - .offset:         8
        .size:           16
        .value_kind:     by_value
    .group_segment_fixed_size: 0
    .kernarg_segment_align: 8
    .kernarg_segment_size: 24
    .language:       OpenCL C
    .language_version:
      - 2
      - 0
    .max_flat_workgroup_size: 256
    .name:           _ZN2at6native29vectorized_elementwise_kernelILi16EZZZNS0_12_GLOBAL__N_130modified_bessel_k0_kernel_cudaERNS_18TensorIteratorBaseEENKUlvE_clEvENKUlvE0_clEvEUlfE_St5arrayIPcLm2EEEEviT0_T1_
    .private_segment_fixed_size: 0
    .sgpr_count:     39
    .sgpr_spill_count: 0
    .symbol:         _ZN2at6native29vectorized_elementwise_kernelILi16EZZZNS0_12_GLOBAL__N_130modified_bessel_k0_kernel_cudaERNS_18TensorIteratorBaseEENKUlvE_clEvENKUlvE0_clEvEUlfE_St5arrayIPcLm2EEEEviT0_T1_.kd
    .uniform_work_group_size: 1
    .uses_dynamic_stack: false
    .vgpr_count:     32
    .vgpr_spill_count: 0
    .wavefront_size: 64
  - .agpr_count:     0
    .args:
      - .offset:         0
        .size:           4
        .value_kind:     by_value
      - .offset:         4
        .size:           1
        .value_kind:     by_value
      - .offset:         8
        .size:           16
        .value_kind:     by_value
    .group_segment_fixed_size: 0
    .kernarg_segment_align: 8
    .kernarg_segment_size: 24
    .language:       OpenCL C
    .language_version:
      - 2
      - 0
    .max_flat_workgroup_size: 256
    .name:           _ZN2at6native29vectorized_elementwise_kernelILi8EZZZNS0_12_GLOBAL__N_130modified_bessel_k0_kernel_cudaERNS_18TensorIteratorBaseEENKUlvE_clEvENKUlvE0_clEvEUlfE_St5arrayIPcLm2EEEEviT0_T1_
    .private_segment_fixed_size: 0
    .sgpr_count:     39
    .sgpr_spill_count: 0
    .symbol:         _ZN2at6native29vectorized_elementwise_kernelILi8EZZZNS0_12_GLOBAL__N_130modified_bessel_k0_kernel_cudaERNS_18TensorIteratorBaseEENKUlvE_clEvENKUlvE0_clEvEUlfE_St5arrayIPcLm2EEEEviT0_T1_.kd
    .uniform_work_group_size: 1
    .uses_dynamic_stack: false
    .vgpr_count:     32
    .vgpr_spill_count: 0
    .wavefront_size: 64
  - .agpr_count:     0
    .args:
      - .offset:         0
        .size:           4
        .value_kind:     by_value
      - .offset:         4
        .size:           1
        .value_kind:     by_value
      - .offset:         8
        .size:           16
        .value_kind:     by_value
    .group_segment_fixed_size: 0
    .kernarg_segment_align: 8
    .kernarg_segment_size: 24
    .language:       OpenCL C
    .language_version:
      - 2
      - 0
    .max_flat_workgroup_size: 256
    .name:           _ZN2at6native29vectorized_elementwise_kernelILi4EZZZNS0_12_GLOBAL__N_130modified_bessel_k0_kernel_cudaERNS_18TensorIteratorBaseEENKUlvE_clEvENKUlvE0_clEvEUlfE_St5arrayIPcLm2EEEEviT0_T1_
    .private_segment_fixed_size: 0
    .sgpr_count:     39
    .sgpr_spill_count: 0
    .symbol:         _ZN2at6native29vectorized_elementwise_kernelILi4EZZZNS0_12_GLOBAL__N_130modified_bessel_k0_kernel_cudaERNS_18TensorIteratorBaseEENKUlvE_clEvENKUlvE0_clEvEUlfE_St5arrayIPcLm2EEEEviT0_T1_.kd
    .uniform_work_group_size: 1
    .uses_dynamic_stack: false
    .vgpr_count:     32
    .vgpr_spill_count: 0
    .wavefront_size: 64
  - .agpr_count:     0
    .args:
      - .offset:         0
        .size:           4
        .value_kind:     by_value
      - .offset:         4
        .size:           1
        .value_kind:     by_value
      - .offset:         8
        .size:           16
        .value_kind:     by_value
    .group_segment_fixed_size: 0
    .kernarg_segment_align: 8
    .kernarg_segment_size: 24
    .language:       OpenCL C
    .language_version:
      - 2
      - 0
    .max_flat_workgroup_size: 256
    .name:           _ZN2at6native29vectorized_elementwise_kernelILi2EZZZNS0_12_GLOBAL__N_130modified_bessel_k0_kernel_cudaERNS_18TensorIteratorBaseEENKUlvE_clEvENKUlvE0_clEvEUlfE_St5arrayIPcLm2EEEEviT0_T1_
    .private_segment_fixed_size: 0
    .sgpr_count:     39
    .sgpr_spill_count: 0
    .symbol:         _ZN2at6native29vectorized_elementwise_kernelILi2EZZZNS0_12_GLOBAL__N_130modified_bessel_k0_kernel_cudaERNS_18TensorIteratorBaseEENKUlvE_clEvENKUlvE0_clEvEUlfE_St5arrayIPcLm2EEEEviT0_T1_.kd
    .uniform_work_group_size: 1
    .uses_dynamic_stack: false
    .vgpr_count:     32
    .vgpr_spill_count: 0
    .wavefront_size: 64
  - .agpr_count:     0
    .args:
      - .offset:         0
        .size:           4
        .value_kind:     by_value
      - .offset:         4
        .size:           1
        .value_kind:     by_value
      - .offset:         8
        .size:           16
        .value_kind:     by_value
      - .offset:         24
        .size:           1
        .value_kind:     by_value
      - .offset:         25
        .size:           1
        .value_kind:     by_value
      - .offset:         26
        .size:           1
        .value_kind:     by_value
      - .offset:         27
        .size:           1
        .value_kind:     by_value
    .group_segment_fixed_size: 0
    .kernarg_segment_align: 8
    .kernarg_segment_size: 28
    .language:       OpenCL C
    .language_version:
      - 2
      - 0
    .max_flat_workgroup_size: 256
    .name:           _ZN2at6native27unrolled_elementwise_kernelIZZZNS0_12_GLOBAL__N_130modified_bessel_k0_kernel_cudaERNS_18TensorIteratorBaseEENKUlvE_clEvENKUlvE0_clEvEUlfE_St5arrayIPcLm2EELi4E23TrivialOffsetCalculatorILi1EjESC_NS0_6memory15LoadWithoutCastENSD_16StoreWithoutCastEEEviT_T0_T2_T3_T4_T5_
    .private_segment_fixed_size: 0
    .sgpr_count:     39
    .sgpr_spill_count: 0
    .symbol:         _ZN2at6native27unrolled_elementwise_kernelIZZZNS0_12_GLOBAL__N_130modified_bessel_k0_kernel_cudaERNS_18TensorIteratorBaseEENKUlvE_clEvENKUlvE0_clEvEUlfE_St5arrayIPcLm2EELi4E23TrivialOffsetCalculatorILi1EjESC_NS0_6memory15LoadWithoutCastENSD_16StoreWithoutCastEEEviT_T0_T2_T3_T4_T5_.kd
    .uniform_work_group_size: 1
    .uses_dynamic_stack: false
    .vgpr_count:     32
    .vgpr_spill_count: 0
    .wavefront_size: 64
  - .agpr_count:     0
    .args:
      - .offset:         0
        .size:           4
        .value_kind:     by_value
      - .offset:         8
        .size:           352
        .value_kind:     by_value
    .group_segment_fixed_size: 0
    .kernarg_segment_align: 8
    .kernarg_segment_size: 360
    .language:       OpenCL C
    .language_version:
      - 2
      - 0
    .max_flat_workgroup_size: 128
    .name:           _ZN2at6native32elementwise_kernel_manual_unrollILi128ELi4EZNS0_22gpu_kernel_impl_nocastIZZZNS0_12_GLOBAL__N_130modified_bessel_k0_kernel_cudaERNS_18TensorIteratorBaseEENKUlvE_clEvENKUlvE0_clEvEUlfE_EEvS5_RKT_EUlibE_EEviT1_
    .private_segment_fixed_size: 0
    .sgpr_count:     64
    .sgpr_spill_count: 0
    .symbol:         _ZN2at6native32elementwise_kernel_manual_unrollILi128ELi4EZNS0_22gpu_kernel_impl_nocastIZZZNS0_12_GLOBAL__N_130modified_bessel_k0_kernel_cudaERNS_18TensorIteratorBaseEENKUlvE_clEvENKUlvE0_clEvEUlfE_EEvS5_RKT_EUlibE_EEviT1_.kd
    .uniform_work_group_size: 1
    .uses_dynamic_stack: false
    .vgpr_count:     32
    .vgpr_spill_count: 0
    .wavefront_size: 64
  - .agpr_count:     0
    .args:
      - .offset:         0
        .size:           4
        .value_kind:     by_value
      - .offset:         8
        .size:           32
        .value_kind:     by_value
    .group_segment_fixed_size: 0
    .kernarg_segment_align: 8
    .kernarg_segment_size: 40
    .language:       OpenCL C
    .language_version:
      - 2
      - 0
    .max_flat_workgroup_size: 128
    .name:           _ZN2at6native32elementwise_kernel_manual_unrollILi128ELi4EZNS0_15gpu_kernel_implIZZZNS0_12_GLOBAL__N_130modified_bessel_k0_kernel_cudaERNS_18TensorIteratorBaseEENKUlvE_clEvENKUlvE0_clEvEUlfE_EEvS5_RKT_EUlibE_EEviT1_
    .private_segment_fixed_size: 0
    .sgpr_count:     62
    .sgpr_spill_count: 0
    .symbol:         _ZN2at6native32elementwise_kernel_manual_unrollILi128ELi4EZNS0_15gpu_kernel_implIZZZNS0_12_GLOBAL__N_130modified_bessel_k0_kernel_cudaERNS_18TensorIteratorBaseEENKUlvE_clEvENKUlvE0_clEvEUlfE_EEvS5_RKT_EUlibE_EEviT1_.kd
    .uniform_work_group_size: 1
    .uses_dynamic_stack: false
    .vgpr_count:     28
    .vgpr_spill_count: 0
    .wavefront_size: 64
  - .agpr_count:     0
    .args:
      - .offset:         0
        .size:           4
        .value_kind:     by_value
      - .offset:         8
        .size:           352
        .value_kind:     by_value
    .group_segment_fixed_size: 0
    .kernarg_segment_align: 8
    .kernarg_segment_size: 360
    .language:       OpenCL C
    .language_version:
      - 2
      - 0
    .max_flat_workgroup_size: 128
    .name:           _ZN2at6native32elementwise_kernel_manual_unrollILi128ELi4EZNS0_15gpu_kernel_implIZZZNS0_12_GLOBAL__N_130modified_bessel_k0_kernel_cudaERNS_18TensorIteratorBaseEENKUlvE_clEvENKUlvE0_clEvEUlfE_EEvS5_RKT_EUlibE0_EEviT1_
    .private_segment_fixed_size: 0
    .sgpr_count:     84
    .sgpr_spill_count: 0
    .symbol:         _ZN2at6native32elementwise_kernel_manual_unrollILi128ELi4EZNS0_15gpu_kernel_implIZZZNS0_12_GLOBAL__N_130modified_bessel_k0_kernel_cudaERNS_18TensorIteratorBaseEENKUlvE_clEvENKUlvE0_clEvEUlfE_EEvS5_RKT_EUlibE0_EEviT1_.kd
    .uniform_work_group_size: 1
    .uses_dynamic_stack: false
    .vgpr_count:     38
    .vgpr_spill_count: 0
    .wavefront_size: 64
amdhsa.target:   amdgcn-amd-amdhsa--gfx90a
amdhsa.version:
  - 1
  - 2
...

	.end_amdgpu_metadata
